;; amdgpu-corpus repo=ROCm/rocFFT kind=compiled arch=gfx906 opt=O3
	.text
	.amdgcn_target "amdgcn-amd-amdhsa--gfx906"
	.amdhsa_code_object_version 6
	.protected	bluestein_single_back_len1638_dim1_dp_op_CI_CI ; -- Begin function bluestein_single_back_len1638_dim1_dp_op_CI_CI
	.globl	bluestein_single_back_len1638_dim1_dp_op_CI_CI
	.p2align	8
	.type	bluestein_single_back_len1638_dim1_dp_op_CI_CI,@function
bluestein_single_back_len1638_dim1_dp_op_CI_CI: ; @bluestein_single_back_len1638_dim1_dp_op_CI_CI
; %bb.0:
	s_mov_b64 s[58:59], s[2:3]
	s_mov_b64 s[56:57], s[0:1]
	s_load_dwordx4 s[0:3], s[4:5], 0x28
	v_mul_u32_u24_e32 v1, 0x169, v0
	v_add_u32_sdwa v253, s6, v1 dst_sel:DWORD dst_unused:UNUSED_PAD src0_sel:DWORD src1_sel:WORD_1
	v_mov_b32_e32 v254, 0
	s_add_u32 s56, s56, s7
	s_waitcnt lgkmcnt(0)
	v_cmp_gt_u64_e32 vcc, s[0:1], v[253:254]
	s_addc_u32 s57, s57, 0
	s_and_saveexec_b64 s[0:1], vcc
	s_cbranch_execz .LBB0_31
; %bb.1:
	s_load_dwordx2 s[12:13], s[4:5], 0x0
	s_load_dwordx2 s[6:7], s[4:5], 0x38
	s_movk_i32 s0, 0xb6
	v_mul_lo_u16_sdwa v1, v1, s0 dst_sel:DWORD dst_unused:UNUSED_PAD src0_sel:WORD_1 src1_sel:DWORD
	v_sub_u16_e32 v254, v0, v1
	s_movk_i32 s0, 0x7e
	v_cmp_gt_u16_e64 s[0:1], s0, v254
	v_lshlrev_b32_e32 v255, 4, v254
	s_and_saveexec_b64 s[14:15], s[0:1]
	s_cbranch_execz .LBB0_3
; %bb.2:
	s_load_dwordx2 s[8:9], s[4:5], 0x18
	s_waitcnt lgkmcnt(0)
	s_load_dwordx4 s[8:11], s[8:9], 0x0
	s_waitcnt lgkmcnt(0)
	v_mad_u64_u32 v[0:1], s[16:17], s10, v253, 0
	v_mad_u64_u32 v[2:3], s[16:17], s8, v254, 0
	;; [unrolled: 1-line block ×4, first 2 shown]
	v_mov_b32_e32 v1, v4
	v_lshlrev_b64 v[0:1], 4, v[0:1]
	v_mov_b32_e32 v3, v5
	v_mov_b32_e32 v6, s3
	v_lshlrev_b64 v[2:3], 4, v[2:3]
	v_add_co_u32_e32 v0, vcc, s2, v0
	v_addc_co_u32_e32 v1, vcc, v6, v1, vcc
	v_add_co_u32_e32 v16, vcc, v0, v2
	v_addc_co_u32_e32 v17, vcc, v1, v3, vcc
	v_mov_b32_e32 v0, s13
	v_add_co_u32_e32 v94, vcc, s12, v255
	s_mul_i32 s2, s9, 0x7e0
	s_mul_hi_u32 s3, s8, 0x7e0
	v_addc_co_u32_e32 v95, vcc, 0, v0, vcc
	s_add_i32 s2, s3, s2
	s_mul_i32 s3, s8, 0x7e0
	v_mov_b32_e32 v0, s2
	v_add_co_u32_e32 v18, vcc, s3, v16
	v_addc_co_u32_e32 v19, vcc, v17, v0, vcc
	global_load_dwordx4 v[0:3], v[16:17], off
	global_load_dwordx4 v[4:7], v[18:19], off
	global_load_dwordx4 v[8:11], v255, s[12:13]
	global_load_dwordx4 v[12:15], v255, s[12:13] offset:2016
	v_mov_b32_e32 v16, s2
	v_add_co_u32_e32 v28, vcc, s3, v18
	v_addc_co_u32_e32 v29, vcc, v19, v16, vcc
	v_mov_b32_e32 v20, s2
	v_add_co_u32_e32 v30, vcc, s3, v28
	v_addc_co_u32_e32 v31, vcc, v29, v20, vcc
	s_movk_i32 s8, 0x1000
	v_add_co_u32_e32 v40, vcc, s8, v94
	v_addc_co_u32_e32 v41, vcc, 0, v95, vcc
	global_load_dwordx4 v[16:19], v255, s[12:13] offset:4032
	global_load_dwordx4 v[20:23], v[28:29], off
	global_load_dwordx4 v[24:27], v[30:31], off
	v_mov_b32_e32 v28, s2
	v_add_co_u32_e32 v42, vcc, s3, v30
	v_addc_co_u32_e32 v43, vcc, v31, v28, vcc
	global_load_dwordx4 v[28:31], v[42:43], off
	global_load_dwordx4 v[32:35], v[40:41], off offset:1952
	global_load_dwordx4 v[36:39], v[40:41], off offset:3968
	v_mov_b32_e32 v40, s2
	v_add_co_u32_e32 v44, vcc, s3, v42
	v_addc_co_u32_e32 v45, vcc, v43, v40, vcc
	s_movk_i32 s8, 0x2000
	v_add_co_u32_e32 v56, vcc, s8, v94
	v_addc_co_u32_e32 v57, vcc, 0, v95, vcc
	v_mov_b32_e32 v46, s2
	v_add_co_u32_e32 v58, vcc, s3, v44
	v_addc_co_u32_e32 v59, vcc, v45, v46, vcc
	global_load_dwordx4 v[40:43], v[44:45], off
	s_nop 0
	global_load_dwordx4 v[44:47], v[58:59], off
	global_load_dwordx4 v[48:51], v[56:57], off offset:1888
	global_load_dwordx4 v[52:55], v[56:57], off offset:3904
	v_mov_b32_e32 v56, s2
	v_add_co_u32_e32 v60, vcc, s3, v58
	v_addc_co_u32_e32 v61, vcc, v59, v56, vcc
	s_movk_i32 s8, 0x3000
	v_add_co_u32_e32 v72, vcc, s8, v94
	v_addc_co_u32_e32 v73, vcc, 0, v95, vcc
	v_mov_b32_e32 v62, s2
	v_add_co_u32_e32 v74, vcc, s3, v60
	v_addc_co_u32_e32 v75, vcc, v61, v62, vcc
	global_load_dwordx4 v[56:59], v[60:61], off
	s_nop 0
	;; [unrolled: 14-line block ×3, first 2 shown]
	global_load_dwordx4 v[76:79], v[90:91], off
	global_load_dwordx4 v[80:83], v[88:89], off offset:1760
	global_load_dwordx4 v[84:87], v[88:89], off offset:3776
	v_mov_b32_e32 v88, s2
	v_add_co_u32_e32 v92, vcc, s3, v90
	v_addc_co_u32_e32 v93, vcc, v91, v88, vcc
	s_movk_i32 s8, 0x5000
	v_add_co_u32_e32 v104, vcc, s8, v94
	v_addc_co_u32_e32 v105, vcc, 0, v95, vcc
	global_load_dwordx4 v[88:91], v[92:93], off
	v_mov_b32_e32 v94, s2
	v_add_co_u32_e32 v106, vcc, s3, v92
	v_addc_co_u32_e32 v107, vcc, v93, v94, vcc
	global_load_dwordx4 v[92:95], v[104:105], off offset:1696
	global_load_dwordx4 v[96:99], v[106:107], off
	global_load_dwordx4 v[100:103], v[104:105], off offset:3712
	s_waitcnt vmcnt(23)
	v_mul_f64 v[104:105], v[2:3], v[10:11]
	v_mul_f64 v[10:11], v[0:1], v[10:11]
	v_fma_f64 v[0:1], v[0:1], v[8:9], v[104:105]
	v_fma_f64 v[2:3], v[2:3], v[8:9], -v[10:11]
	s_waitcnt vmcnt(22)
	v_mul_f64 v[8:9], v[6:7], v[14:15]
	v_mul_f64 v[10:11], v[4:5], v[14:15]
	s_waitcnt vmcnt(20)
	v_mul_f64 v[14:15], v[22:23], v[18:19]
	v_mul_f64 v[18:19], v[20:21], v[18:19]
	;; [unrolled: 3-line block ×4, first 2 shown]
	v_fma_f64 v[4:5], v[4:5], v[12:13], v[8:9]
	v_fma_f64 v[6:7], v[6:7], v[12:13], -v[10:11]
	v_fma_f64 v[8:9], v[20:21], v[16:17], v[14:15]
	v_fma_f64 v[10:11], v[22:23], v[16:17], -v[18:19]
	;; [unrolled: 2-line block ×4, first 2 shown]
	ds_write_b128 v255, v[0:3]
	ds_write_b128 v255, v[4:7] offset:2016
	ds_write_b128 v255, v[8:11] offset:4032
	;; [unrolled: 1-line block ×4, first 2 shown]
	s_waitcnt vmcnt(13)
	v_mul_f64 v[0:1], v[42:43], v[50:51]
	v_mul_f64 v[2:3], v[40:41], v[50:51]
	s_waitcnt vmcnt(12)
	v_mul_f64 v[4:5], v[46:47], v[54:55]
	v_mul_f64 v[6:7], v[44:45], v[54:55]
	v_fma_f64 v[0:1], v[40:41], v[48:49], v[0:1]
	v_fma_f64 v[2:3], v[42:43], v[48:49], -v[2:3]
	v_fma_f64 v[4:5], v[44:45], v[52:53], v[4:5]
	v_fma_f64 v[6:7], v[46:47], v[52:53], -v[6:7]
	s_waitcnt vmcnt(9)
	v_mul_f64 v[8:9], v[58:59], v[66:67]
	v_mul_f64 v[10:11], v[56:57], v[66:67]
	s_waitcnt vmcnt(8)
	v_mul_f64 v[12:13], v[62:63], v[70:71]
	v_mul_f64 v[14:15], v[60:61], v[70:71]
	v_fma_f64 v[8:9], v[56:57], v[64:65], v[8:9]
	v_fma_f64 v[10:11], v[58:59], v[64:65], -v[10:11]
	v_fma_f64 v[12:13], v[60:61], v[68:69], v[12:13]
	v_fma_f64 v[14:15], v[62:63], v[68:69], -v[14:15]
	;; [unrolled: 10-line block ×4, first 2 shown]
	ds_write_b128 v255, v[0:3] offset:10080
	ds_write_b128 v255, v[4:7] offset:12096
	;; [unrolled: 1-line block ×8, first 2 shown]
.LBB0_3:
	s_or_b64 exec, exec, s[14:15]
	s_waitcnt lgkmcnt(0)
	s_barrier
	s_waitcnt lgkmcnt(0)
                                        ; implicit-def: $vgpr0_vgpr1
                                        ; implicit-def: $vgpr4_vgpr5
                                        ; implicit-def: $vgpr8_vgpr9
                                        ; implicit-def: $vgpr12_vgpr13
                                        ; implicit-def: $vgpr16_vgpr17
                                        ; implicit-def: $vgpr20_vgpr21
                                        ; implicit-def: $vgpr24_vgpr25
                                        ; implicit-def: $vgpr28_vgpr29
                                        ; implicit-def: $vgpr32_vgpr33
                                        ; implicit-def: $vgpr36_vgpr37
                                        ; implicit-def: $vgpr40_vgpr41
                                        ; implicit-def: $vgpr44_vgpr45
                                        ; implicit-def: $vgpr48_vgpr49
	s_and_saveexec_b64 s[2:3], s[0:1]
	s_cbranch_execz .LBB0_5
; %bb.4:
	ds_read_b128 v[0:3], v255
	ds_read_b128 v[4:7], v255 offset:2016
	ds_read_b128 v[8:11], v255 offset:4032
	;; [unrolled: 1-line block ×12, first 2 shown]
.LBB0_5:
	s_or_b64 exec, exec, s[2:3]
	s_waitcnt lgkmcnt(0)
	v_add_f64 v[60:61], v[6:7], -v[50:51]
	s_mov_b32 s26, 0x4267c47c
	s_mov_b32 s27, 0xbfddbe06
	v_add_f64 v[116:117], v[4:5], v[48:49]
	v_add_f64 v[62:63], v[10:11], -v[46:47]
	s_mov_b32 s8, 0xe00740e9
	s_mov_b32 s22, 0x42a4c3d2
	;; [unrolled: 1-line block ×3, first 2 shown]
	v_mul_f64 v[65:66], v[60:61], s[26:27]
	s_mov_b32 s23, 0xbfea55e2
	v_add_f64 v[158:159], v[4:5], -v[48:49]
	v_add_f64 v[126:127], v[8:9], v[44:45]
	v_mul_f64 v[249:250], v[62:63], s[22:23]
	v_add_f64 v[180:181], v[14:15], -v[42:43]
	s_mov_b32 s2, 0x1ea71119
	s_mov_b32 s28, 0x66966769
	v_fma_f64 v[52:53], v[116:117], s[8:9], v[65:66]
	s_mov_b32 s3, 0x3fe22d96
	s_mov_b32 s29, 0xbfefc445
	v_add_f64 v[120:121], v[6:7], v[50:51]
	v_mul_f64 v[67:68], v[158:159], s[26:27]
	v_add_f64 v[174:175], v[8:9], -v[44:45]
	v_fma_f64 v[56:57], v[126:127], s[2:3], v[249:250]
	v_add_f64 v[128:129], v[12:13], v[40:41]
	v_add_f64 v[52:53], v[0:1], v[52:53]
	v_mul_f64 v[72:73], v[180:181], s[28:29]
	v_add_f64 v[184:185], v[18:19], -v[38:39]
	s_mov_b32 s16, 0xebaa3ed8
	s_mov_b32 s30, 0x2ef20147
	;; [unrolled: 1-line block ×4, first 2 shown]
	v_fma_f64 v[54:55], v[120:121], s[8:9], -v[67:68]
	v_add_f64 v[124:125], v[10:11], v[46:47]
	v_mul_f64 v[70:71], v[174:175], s[22:23]
	v_add_f64 v[176:177], v[12:13], -v[40:41]
	v_add_f64 v[52:53], v[56:57], v[52:53]
	v_fma_f64 v[56:57], v[128:129], s[16:17], v[72:73]
	v_add_f64 v[132:133], v[16:17], v[36:37]
	v_mul_f64 v[76:77], v[184:185], s[30:31]
	v_add_f64 v[198:199], v[22:23], -v[34:35]
	s_mov_b32 s18, 0xb2365da1
	s_mov_b32 s34, 0x24c2f84
	;; [unrolled: 1-line block ×4, first 2 shown]
	v_add_f64 v[54:55], v[2:3], v[54:55]
	v_fma_f64 v[58:59], v[124:125], s[2:3], -v[70:71]
	v_add_f64 v[134:135], v[14:15], v[42:43]
	v_mul_f64 v[74:75], v[176:177], s[28:29]
	v_add_f64 v[178:179], v[16:17], -v[36:37]
	v_add_f64 v[52:53], v[56:57], v[52:53]
	v_fma_f64 v[56:57], v[132:133], s[18:19], v[76:77]
	v_add_f64 v[148:149], v[20:21], v[32:33]
	v_mul_f64 v[80:81], v[198:199], s[34:35]
	s_mov_b32 s20, 0xd0032e0c
	s_mov_b32 s21, 0xbfe7f3cc
	v_add_f64 v[54:55], v[58:59], v[54:55]
	v_fma_f64 v[58:59], v[134:135], s[16:17], -v[74:75]
	v_add_f64 v[156:157], v[18:19], v[38:39]
	v_mul_f64 v[78:79], v[178:179], s[30:31]
	v_add_f64 v[182:183], v[20:21], -v[32:33]
	v_add_f64 v[52:53], v[56:57], v[52:53]
	v_fma_f64 v[56:57], v[148:149], s[20:21], v[80:81]
	v_mul_f64 v[88:89], v[60:61], s[22:23]
	v_add_f64 v[214:215], v[26:27], -v[30:31]
	s_mov_b32 s36, 0x4bc48dbf
	s_mov_b32 s37, 0xbfcea1e5
	v_add_f64 v[54:55], v[58:59], v[54:55]
	v_fma_f64 v[58:59], v[156:157], s[18:19], -v[78:79]
	v_add_f64 v[152:153], v[22:23], v[34:35]
	v_mul_f64 v[82:83], v[182:183], s[34:35]
	v_add_f64 v[52:53], v[56:57], v[52:53]
	v_fma_f64 v[56:57], v[116:117], s[2:3], v[88:89]
	v_mul_f64 v[90:91], v[62:63], s[30:31]
	v_add_f64 v[166:167], v[24:25], v[28:29]
	v_mul_f64 v[84:85], v[214:215], s[36:37]
	s_mov_b32 s24, 0x93053d00
	s_mov_b32 s25, 0xbfef11f4
	v_add_f64 v[54:55], v[58:59], v[54:55]
	v_fma_f64 v[58:59], v[152:153], s[20:21], -v[82:83]
	v_mul_f64 v[140:141], v[158:159], s[22:23]
	v_add_f64 v[210:211], v[24:25], -v[28:29]
	v_add_f64 v[56:57], v[0:1], v[56:57]
	v_fma_f64 v[92:93], v[126:127], s[18:19], v[90:91]
	v_mul_f64 v[104:105], v[180:181], s[36:37]
	v_fma_f64 v[96:97], v[166:167], s[24:25], v[84:85]
	v_mul_f64 v[130:131], v[60:61], s[28:29]
	s_mov_b32 s41, 0x3fe5384d
	s_mov_b32 s40, s34
	v_add_f64 v[54:55], v[58:59], v[54:55]
	v_fma_f64 v[58:59], v[120:121], s[2:3], -v[140:141]
	v_mul_f64 v[108:109], v[174:175], s[30:31]
	v_add_f64 v[168:169], v[26:27], v[30:31]
	v_mul_f64 v[86:87], v[210:211], s[36:37]
	v_add_f64 v[56:57], v[92:93], v[56:57]
	v_fma_f64 v[100:101], v[128:129], s[24:25], v[104:105]
	v_mul_f64 v[106:107], v[184:185], s[40:41]
	v_add_f64 v[92:93], v[96:97], v[52:53]
	v_fma_f64 v[96:97], v[116:117], s[16:17], v[130:131]
	v_mul_f64 v[138:139], v[62:63], s[36:37]
	s_mov_b32 s39, 0x3fefc445
	s_mov_b32 s38, s28
	;; [unrolled: 1-line block ×4, first 2 shown]
	v_add_f64 v[58:59], v[2:3], v[58:59]
	v_fma_f64 v[94:95], v[124:125], s[18:19], -v[108:109]
	v_mul_f64 v[112:113], v[176:177], s[36:37]
	v_fma_f64 v[98:99], v[168:169], s[24:25], -v[86:87]
	v_add_f64 v[52:53], v[100:101], v[56:57]
	v_fma_f64 v[56:57], v[132:133], s[20:21], v[106:107]
	v_mul_f64 v[172:173], v[158:159], s[28:29]
	v_mul_f64 v[110:111], v[198:199], s[38:39]
	v_add_f64 v[96:97], v[0:1], v[96:97]
	v_fma_f64 v[100:101], v[126:127], s[24:25], v[138:139]
	v_mul_f64 v[142:143], v[180:181], s[44:45]
	s_mov_b32 s43, 0x3fddbe06
	s_mov_b32 s42, s26
	v_add_f64 v[58:59], v[94:95], v[58:59]
	v_fma_f64 v[102:103], v[134:135], s[24:25], -v[112:113]
	v_mul_f64 v[114:115], v[178:179], s[40:41]
	v_add_f64 v[94:95], v[98:99], v[54:55]
	v_fma_f64 v[98:99], v[120:121], s[16:17], -v[172:173]
	v_mul_f64 v[170:171], v[174:175], s[36:37]
	v_add_f64 v[52:53], v[56:57], v[52:53]
	v_fma_f64 v[56:57], v[148:149], s[16:17], v[110:111]
	v_mul_f64 v[118:119], v[214:215], s[42:43]
	v_add_f64 v[96:97], v[100:101], v[96:97]
	v_fma_f64 v[100:101], v[128:129], s[18:19], v[142:143]
	v_mul_f64 v[144:145], v[184:185], s[42:43]
	v_add_f64 v[54:55], v[102:103], v[58:59]
	v_fma_f64 v[58:59], v[156:157], s[20:21], -v[114:115]
	v_mul_f64 v[122:123], v[182:183], s[38:39]
	v_add_f64 v[98:99], v[2:3], v[98:99]
	v_fma_f64 v[102:103], v[124:125], s[24:25], -v[170:171]
	v_mul_f64 v[150:151], v[176:177], s[44:45]
	v_add_f64 v[52:53], v[56:57], v[52:53]
	v_fma_f64 v[56:57], v[166:167], s[8:9], v[118:119]
	v_add_f64 v[100:101], v[100:101], v[96:97]
	v_fma_f64 v[162:163], v[132:133], s[8:9], v[144:145]
	v_mul_f64 v[146:147], v[198:199], s[22:23]
	v_mul_f64 v[190:191], v[60:61], s[30:31]
	v_add_f64 v[54:55], v[58:59], v[54:55]
	v_fma_f64 v[58:59], v[152:153], s[16:17], -v[122:123]
	v_mul_f64 v[136:137], v[210:211], s[42:43]
	v_add_f64 v[98:99], v[102:103], v[98:99]
	v_fma_f64 v[102:103], v[134:135], s[18:19], -v[150:151]
	v_mul_f64 v[154:155], v[178:179], s[42:43]
	v_add_f64 v[96:97], v[56:57], v[52:53]
	v_add_f64 v[52:53], v[162:163], v[100:101]
	v_fma_f64 v[56:57], v[148:149], s[2:3], v[146:147]
	v_mul_f64 v[162:163], v[214:215], s[34:35]
	v_fma_f64 v[100:101], v[116:117], s[18:19], v[190:191]
	v_mul_f64 v[186:187], v[62:63], s[40:41]
	v_add_f64 v[54:55], v[58:59], v[54:55]
	v_fma_f64 v[58:59], v[168:169], s[8:9], -v[136:137]
	v_add_f64 v[102:103], v[102:103], v[98:99]
	v_fma_f64 v[164:165], v[156:157], s[8:9], -v[154:155]
	v_mul_f64 v[160:161], v[182:183], s[22:23]
	v_mul_f64 v[204:205], v[158:159], s[30:31]
	v_add_f64 v[52:53], v[56:57], v[52:53]
	v_fma_f64 v[56:57], v[166:167], s[20:21], v[162:163]
	v_add_f64 v[192:193], v[0:1], v[100:101]
	v_fma_f64 v[194:195], v[126:127], s[20:21], v[186:187]
	v_mul_f64 v[223:224], v[60:61], s[34:35]
	v_mul_f64 v[239:240], v[158:159], s[34:35]
	v_add_f64 v[98:99], v[58:59], v[54:55]
	v_add_f64 v[54:55], v[164:165], v[102:103]
	v_fma_f64 v[58:59], v[152:153], s[2:3], -v[160:161]
	v_mul_f64 v[164:165], v[210:211], s[34:35]
	v_fma_f64 v[102:103], v[120:121], s[18:19], -v[204:205]
	v_mul_f64 v[202:203], v[174:175], s[40:41]
	v_add_f64 v[100:101], v[56:57], v[52:53]
	v_add_f64 v[52:53], v[194:195], v[192:193]
	v_fma_f64 v[192:193], v[116:117], s[20:21], v[223:224]
	v_mul_f64 v[225:226], v[62:63], s[38:39]
	v_fma_f64 v[194:195], v[120:121], s[20:21], -v[239:240]
	v_mul_f64 v[237:238], v[174:175], s[38:39]
	v_add_f64 v[54:55], v[58:59], v[54:55]
	v_fma_f64 v[58:59], v[168:169], s[20:21], -v[164:165]
	v_add_f64 v[196:197], v[2:3], v[102:103]
	v_fma_f64 v[206:207], v[124:125], s[20:21], -v[202:203]
	v_mul_f64 v[188:189], v[180:181], s[42:43]
	v_mul_f64 v[200:201], v[176:177], s[42:43]
	v_add_f64 v[208:209], v[0:1], v[192:193]
	v_fma_f64 v[216:217], v[126:127], s[16:17], v[225:226]
	v_add_f64 v[194:195], v[2:3], v[194:195]
	v_fma_f64 v[218:219], v[124:125], s[16:17], -v[237:238]
	v_mul_f64 v[221:222], v[180:181], s[22:23]
	v_mul_f64 v[235:236], v[176:177], s[22:23]
	s_mov_b32 s49, 0x3fcea1e5
	s_mov_b32 s48, s36
	v_add_f64 v[102:103], v[58:59], v[54:55]
	v_add_f64 v[54:55], v[206:207], v[196:197]
	v_fma_f64 v[56:57], v[128:129], s[8:9], v[188:189]
	v_fma_f64 v[58:59], v[134:135], s[8:9], -v[200:201]
	v_mul_f64 v[196:197], v[184:185], s[28:29]
	v_mul_f64 v[212:213], v[178:179], s[28:29]
	v_add_f64 v[208:209], v[216:217], v[208:209]
	v_add_f64 v[194:195], v[218:219], v[194:195]
	v_fma_f64 v[216:217], v[128:129], s[2:3], v[221:222]
	v_fma_f64 v[227:228], v[134:135], s[2:3], -v[235:236]
	v_mul_f64 v[218:219], v[184:185], s[48:49]
	v_mul_f64 v[233:234], v[178:179], s[48:49]
	;; [unrolled: 6-line block ×4, first 2 shown]
	s_mov_b32 s47, 0x3fea55e2
	s_mov_b32 s46, s22
	v_add_f64 v[52:53], v[56:57], v[52:53]
	v_add_f64 v[54:55], v[58:59], v[54:55]
	v_fma_f64 v[56:57], v[148:149], s[24:25], v[192:193]
	v_fma_f64 v[58:59], v[152:153], s[24:25], -v[206:207]
	v_mul_f64 v[194:195], v[214:215], s[46:47]
	v_mul_f64 v[208:209], v[210:211], s[46:47]
	v_add_f64 v[241:242], v[241:242], v[229:230]
	v_add_f64 v[243:244], v[243:244], v[227:228]
	v_fma_f64 v[245:246], v[148:149], s[8:9], v[216:217]
	v_fma_f64 v[247:248], v[152:153], s[8:9], -v[231:232]
	v_mul_f64 v[227:228], v[214:215], s[30:31]
	v_mul_f64 v[229:230], v[210:211], s[30:31]
	v_add_f64 v[52:53], v[56:57], v[52:53]
	v_add_f64 v[54:55], v[58:59], v[54:55]
	v_fma_f64 v[56:57], v[166:167], s[2:3], v[194:195]
	v_fma_f64 v[58:59], v[168:169], s[2:3], -v[208:209]
	v_add_f64 v[241:242], v[245:246], v[241:242]
	v_add_f64 v[243:244], v[247:248], v[243:244]
	v_fma_f64 v[245:246], v[166:167], s[18:19], v[227:228]
	v_fma_f64 v[247:248], v[168:169], s[18:19], -v[229:230]
	s_load_dwordx2 s[10:11], s[4:5], 0x20
	s_load_dwordx2 s[14:15], s[4:5], 0x8
	v_mul_lo_u16_e32 v64, 13, v254
	v_add_f64 v[56:57], v[56:57], v[52:53]
	v_add_f64 v[58:59], v[58:59], v[54:55]
	s_waitcnt lgkmcnt(0)
	s_barrier
	v_add_f64 v[52:53], v[245:246], v[241:242]
	v_add_f64 v[54:55], v[247:248], v[243:244]
	buffer_store_dword v64, off, s[56:59], 0 offset:16 ; 4-byte Folded Spill
	s_and_saveexec_b64 s[4:5], s[0:1]
	s_cbranch_execz .LBB0_7
; %bb.6:
	v_mul_f64 v[241:242], v[120:121], s[24:25]
	v_mul_f64 v[243:244], v[124:125], s[8:9]
	;; [unrolled: 1-line block ×3, first 2 shown]
	buffer_store_dword v249, off, s[56:59], 0 ; 4-byte Folded Spill
	s_nop 0
	buffer_store_dword v250, off, s[56:59], 0 offset:4 ; 4-byte Folded Spill
	v_mul_f64 v[249:250], v[62:63], s[42:43]
	v_mul_f64 v[180:181], v[180:181], s[34:35]
	buffer_store_dword v67, off, s[56:59], 0 offset:20 ; 4-byte Folded Spill
	s_nop 0
	buffer_store_dword v68, off, s[56:59], 0 offset:24 ; 4-byte Folded Spill
	v_mov_b32_e32 v220, v253
	v_fma_f64 v[245:246], v[158:159], s[48:49], v[241:242]
	v_fma_f64 v[60:61], v[174:175], s[26:27], v[243:244]
	v_fma_f64 v[62:63], v[116:117], s[24:25], v[247:248]
	v_mov_b32_e32 v68, v254
	v_mul_f64 v[184:185], v[184:185], s[46:47]
	buffer_store_dword v65, off, s[56:59], 0 offset:36 ; 4-byte Folded Spill
	s_nop 0
	buffer_store_dword v66, off, s[56:59], 0 offset:40 ; 4-byte Folded Spill
	v_mul_f64 v[66:67], v[168:169], s[16:17]
	v_mul_f64 v[214:215], v[214:215], s[38:39]
	v_add_f64 v[245:246], v[2:3], v[245:246]
	v_fma_f64 v[158:159], v[158:159], s[36:37], v[241:242]
	v_add_f64 v[62:63], v[0:1], v[62:63]
	v_fma_f64 v[174:175], v[174:175], s[42:43], v[243:244]
	v_mul_f64 v[241:242], v[116:117], s[8:9]
	v_mul_f64 v[243:244], v[120:121], s[8:9]
	v_add_f64 v[6:7], v[2:3], v[6:7]
	v_add_f64 v[4:5], v[0:1], v[4:5]
	v_add_f64 v[60:61], v[60:61], v[245:246]
	v_fma_f64 v[245:246], v[126:127], s[8:9], v[249:250]
	v_add_f64 v[158:159], v[2:3], v[158:159]
	v_add_f64 v[6:7], v[6:7], v[10:11]
	;; [unrolled: 1-line block ×4, first 2 shown]
	v_mul_f64 v[245:246], v[134:135], s[20:21]
	v_add_f64 v[158:159], v[174:175], v[158:159]
	v_mul_f64 v[174:175], v[120:121], s[20:21]
	v_add_f64 v[6:7], v[6:7], v[14:15]
	v_add_f64 v[4:5], v[4:5], v[12:13]
	v_fma_f64 v[251:252], v[176:177], s[40:41], v[245:246]
	v_fma_f64 v[176:177], v[176:177], s[34:35], v[245:246]
	v_add_f64 v[174:175], v[239:240], v[174:175]
	v_mul_f64 v[239:240], v[124:125], s[16:17]
	v_mul_f64 v[245:246], v[116:117], s[16:17]
	v_add_f64 v[4:5], v[4:5], v[16:17]
	v_add_f64 v[6:7], v[6:7], v[18:19]
	;; [unrolled: 1-line block ×3, first 2 shown]
	v_fma_f64 v[251:252], v[128:129], s[20:21], v[180:181]
	v_add_f64 v[158:159], v[176:177], v[158:159]
	v_fma_f64 v[180:181], v[128:129], s[20:21], -v[180:181]
	v_add_f64 v[237:238], v[237:238], v[239:240]
	v_add_f64 v[174:175], v[2:3], v[174:175]
	v_mul_f64 v[176:177], v[116:117], s[2:3]
	v_mul_f64 v[239:240], v[120:121], s[16:17]
	v_add_f64 v[130:131], v[245:246], -v[130:131]
	v_add_f64 v[62:63], v[251:252], v[62:63]
	v_mul_f64 v[251:252], v[156:157], s[2:3]
	v_add_f64 v[4:5], v[4:5], v[20:21]
	v_add_f64 v[6:7], v[6:7], v[22:23]
	;; [unrolled: 1-line block ×3, first 2 shown]
	v_mul_f64 v[237:238], v[126:127], s[2:3]
	v_add_f64 v[172:173], v[172:173], v[239:240]
	v_add_f64 v[130:131], v[0:1], v[130:131]
	v_mul_f64 v[239:240], v[166:167], s[20:21]
	v_fma_f64 v[253:254], v[178:179], s[22:23], v[251:252]
	v_fma_f64 v[178:179], v[178:179], s[46:47], v[251:252]
	v_add_f64 v[4:5], v[4:5], v[24:25]
	v_add_f64 v[6:7], v[6:7], v[26:27]
	v_add_f64 v[24:25], v[176:177], -v[88:89]
	v_add_f64 v[20:21], v[239:240], -v[162:163]
	v_add_f64 v[60:61], v[253:254], v[60:61]
	v_fma_f64 v[253:254], v[132:133], s[2:3], v[184:185]
	v_add_f64 v[158:159], v[178:179], v[158:159]
	v_mul_f64 v[178:179], v[134:135], s[2:3]
	v_fma_f64 v[184:185], v[132:133], s[2:3], -v[184:185]
	v_add_f64 v[4:5], v[4:5], v[28:29]
	v_add_f64 v[6:7], v[6:7], v[30:31]
	;; [unrolled: 1-line block ×3, first 2 shown]
	v_mul_f64 v[253:254], v[152:153], s[18:19]
	v_add_f64 v[178:179], v[235:236], v[178:179]
	v_mul_f64 v[235:236], v[156:157], s[24:25]
	v_add_f64 v[4:5], v[4:5], v[32:33]
	v_add_f64 v[6:7], v[6:7], v[34:35]
	v_fma_f64 v[64:65], v[182:183], s[44:45], v[253:254]
	v_fma_f64 v[182:183], v[182:183], s[30:31], v[253:254]
	v_add_f64 v[233:234], v[233:234], v[235:236]
	v_add_f64 v[174:175], v[178:179], v[174:175]
	v_mul_f64 v[178:179], v[126:127], s[16:17]
	v_mov_b32_e32 v253, v220
	v_mov_b32_e32 v254, v68
	v_mul_f64 v[235:236], v[126:127], s[18:19]
	v_add_f64 v[60:61], v[64:65], v[60:61]
	v_mul_f64 v[64:65], v[198:199], s[30:31]
	v_add_f64 v[158:159], v[182:183], v[158:159]
	;; [unrolled: 2-line block ×3, first 2 shown]
	v_add_f64 v[178:179], v[178:179], -v[225:226]
	v_mul_f64 v[225:226], v[128:129], s[2:3]
	v_mul_f64 v[233:234], v[124:125], s[24:25]
	buffer_load_dword v68, off, s[56:59], 0 offset:20 ; 4-byte Folded Reload
	buffer_load_dword v69, off, s[56:59], 0 offset:24 ; 4-byte Folded Reload
	v_fma_f64 v[198:199], v[148:149], s[18:19], v[64:65]
	v_fma_f64 v[64:65], v[148:149], s[18:19], -v[64:65]
	v_add_f64 v[182:183], v[231:232], v[182:183]
	v_mul_f64 v[231:232], v[168:169], s[18:19]
	v_add_f64 v[26:27], v[235:236], -v[90:91]
	v_add_f64 v[220:221], v[225:226], -v[221:222]
	v_mul_f64 v[225:226], v[128:129], s[16:17]
	v_add_f64 v[6:7], v[6:7], v[38:39]
	v_add_f64 v[198:199], v[198:199], v[62:63]
	v_fma_f64 v[62:63], v[210:211], s[28:29], v[66:67]
	v_fma_f64 v[66:67], v[210:211], s[38:39], v[66:67]
	v_fma_f64 v[210:211], v[126:127], s[8:9], -v[249:250]
	v_add_f64 v[229:230], v[229:230], v[231:232]
	v_mul_f64 v[231:232], v[166:167], s[18:19]
	v_add_f64 v[174:175], v[182:183], v[174:175]
	v_mul_f64 v[182:183], v[132:133], s[24:25]
	v_mul_f64 v[249:250], v[168:169], s[8:9]
	v_add_f64 v[62:63], v[62:63], v[60:61]
	v_fma_f64 v[60:61], v[166:167], s[16:17], v[214:215]
	v_add_f64 v[30:31], v[225:226], -v[72:73]
	v_add_f64 v[4:5], v[4:5], v[36:37]
	v_add_f64 v[227:228], v[231:232], -v[227:228]
	v_mul_f64 v[231:232], v[148:149], s[8:9]
	v_add_f64 v[182:183], v[182:183], -v[218:219]
	v_mul_f64 v[218:219], v[134:135], s[24:25]
	v_add_f64 v[6:7], v[6:7], v[42:43]
	v_add_f64 v[60:61], v[60:61], v[198:199]
	v_fma_f64 v[198:199], v[116:117], s[24:25], -v[247:248]
	v_mul_f64 v[247:248], v[156:157], s[18:19]
	v_add_f64 v[4:5], v[4:5], v[40:41]
	v_add_f64 v[216:217], v[231:232], -v[216:217]
	v_mul_f64 v[231:232], v[156:157], s[16:17]
	v_add_f64 v[112:113], v[112:113], v[218:219]
	v_fma_f64 v[214:215], v[166:167], s[16:17], -v[214:215]
	v_add_f64 v[36:37], v[6:7], v[46:47]
	v_add_f64 v[198:199], v[0:1], v[198:199]
	v_add_f64 v[32:33], v[78:79], v[247:248]
	v_add_f64 v[4:5], v[4:5], v[44:45]
	v_add_f64 v[198:199], v[210:211], v[198:199]
	v_mul_f64 v[210:211], v[120:121], s[2:3]
	v_mul_f64 v[120:121], v[120:121], s[18:19]
	v_add_f64 v[180:181], v[180:181], v[198:199]
	v_mul_f64 v[198:199], v[116:117], s[18:19]
	v_mul_f64 v[116:117], v[116:117], s[20:21]
	v_add_f64 v[120:121], v[204:205], v[120:121]
	v_mul_f64 v[204:205], v[128:129], s[24:25]
	v_add_f64 v[140:141], v[140:141], v[210:211]
	v_add_f64 v[180:181], v[184:185], v[180:181]
	v_mul_f64 v[184:185], v[124:125], s[2:3]
	v_add_f64 v[116:117], v[116:117], -v[223:224]
	v_add_f64 v[120:121], v[2:3], v[120:121]
	v_mul_f64 v[223:224], v[126:127], s[24:25]
	v_mul_f64 v[126:127], v[126:127], s[20:21]
	v_add_f64 v[190:191], v[198:199], -v[190:191]
	v_mul_f64 v[198:199], v[132:133], s[8:9]
	v_add_f64 v[64:65], v[64:65], v[180:181]
	v_mul_f64 v[180:181], v[124:125], s[18:19]
	v_add_f64 v[116:117], v[0:1], v[116:117]
	;; [unrolled: 2-line block ×3, first 2 shown]
	v_add_f64 v[10:11], v[223:224], -v[138:139]
	v_add_f64 v[70:71], v[70:71], v[184:185]
	v_add_f64 v[18:19], v[198:199], -v[144:145]
	v_add_f64 v[108:109], v[108:109], v[180:181]
	v_add_f64 v[116:117], v[178:179], v[116:117]
	;; [unrolled: 1-line block ×3, first 2 shown]
	v_mul_f64 v[202:203], v[128:129], s[18:19]
	v_mul_f64 v[128:129], v[128:129], s[8:9]
	;; [unrolled: 1-line block ×3, first 2 shown]
	v_add_f64 v[10:11], v[10:11], v[130:131]
	v_add_f64 v[108:109], v[108:109], v[140:141]
	;; [unrolled: 1-line block ×3, first 2 shown]
	v_mul_f64 v[220:221], v[134:135], s[8:9]
	v_add_f64 v[120:121], v[124:125], v[120:121]
	v_add_f64 v[124:125], v[212:213], v[231:232]
	v_mul_f64 v[231:232], v[148:149], s[20:21]
	v_mul_f64 v[134:135], v[134:135], s[18:19]
	;; [unrolled: 1-line block ×4, first 2 shown]
	v_add_f64 v[116:117], v[182:183], v[116:117]
	v_add_f64 v[200:201], v[200:201], v[220:221]
	v_mul_f64 v[220:221], v[132:133], s[18:19]
	v_mul_f64 v[182:183], v[132:133], s[20:21]
	;; [unrolled: 1-line block ×3, first 2 shown]
	v_add_f64 v[14:15], v[202:203], -v[142:143]
	v_add_f64 v[114:115], v[114:115], v[212:213]
	v_add_f64 v[8:9], v[154:155], v[156:157]
	;; [unrolled: 1-line block ×4, first 2 shown]
	v_add_f64 v[116:117], v[126:127], -v[186:187]
	v_add_f64 v[126:127], v[0:1], v[190:191]
	v_mul_f64 v[200:201], v[152:153], s[24:25]
	v_add_f64 v[132:133], v[132:133], -v[196:197]
	v_mul_f64 v[186:187], v[152:153], s[20:21]
	v_add_f64 v[108:109], v[112:113], v[108:109]
	v_add_f64 v[10:11], v[14:15], v[10:11]
	v_add_f64 v[120:121], v[124:125], v[120:121]
	v_add_f64 v[124:125], v[128:129], -v[188:189]
	v_add_f64 v[116:117], v[116:117], v[126:127]
	v_add_f64 v[190:191], v[206:207], v[200:201]
	v_mul_f64 v[206:207], v[148:149], s[16:17]
	v_mul_f64 v[126:127], v[148:149], s[2:3]
	;; [unrolled: 1-line block ×5, first 2 shown]
	v_add_f64 v[14:15], v[114:115], v[108:109]
	v_add_f64 v[124:125], v[124:125], v[116:117]
	v_add_f64 v[116:117], v[66:67], v[158:159]
	v_add_f64 v[158:159], v[2:3], v[172:173]
	s_waitcnt vmcnt(0)
	v_add_f64 v[108:109], v[68:69], v[243:244]
	v_add_f64 v[66:67], v[148:149], -v[192:193]
	v_add_f64 v[148:149], v[170:171], v[233:234]
	v_add_f64 v[12:13], v[160:161], v[152:153]
	v_mul_f64 v[200:201], v[168:169], s[2:3]
	v_add_f64 v[132:133], v[132:133], v[124:125]
	v_add_f64 v[28:29], v[74:75], v[178:179]
	v_mul_f64 v[196:197], v[166:167], s[8:9]
	v_add_f64 v[2:3], v[2:3], v[108:109]
	v_add_f64 v[22:23], v[126:127], -v[146:147]
	v_add_f64 v[10:11], v[18:19], v[10:11]
	v_add_f64 v[18:19], v[136:137], v[249:250]
	;; [unrolled: 1-line block ×7, first 2 shown]
	v_mul_f64 v[208:209], v[168:169], s[24:25]
	v_mul_f64 v[168:169], v[168:169], s[20:21]
	;; [unrolled: 1-line block ×4, first 2 shown]
	v_add_f64 v[22:23], v[22:23], v[10:11]
	v_add_f64 v[190:191], v[190:191], v[120:121]
	v_add_f64 v[132:133], v[132:133], v[134:135]
	v_add_f64 v[2:3], v[28:29], v[2:3]
	v_add_f64 v[28:29], v[220:221], -v[76:77]
	v_add_f64 v[16:17], v[164:165], v[168:169]
	v_add_f64 v[34:35], v[200:201], -v[84:85]
	v_add_f64 v[166:167], v[166:167], -v[194:195]
	v_add_f64 v[120:121], v[229:230], v[174:175]
	v_add_f64 v[124:125], v[188:189], v[190:191]
	;; [unrolled: 1-line block ×4, first 2 shown]
	v_add_f64 v[32:33], v[231:232], -v[80:81]
	v_add_f64 v[114:115], v[214:215], v[64:65]
	v_add_f64 v[8:9], v[12:13], v[8:9]
	;; [unrolled: 1-line block ×5, first 2 shown]
	buffer_load_dword v14, off, s[56:59], 0 offset:36 ; 4-byte Folded Reload
	buffer_load_dword v15, off, s[56:59], 0 offset:40 ; 4-byte Folded Reload
	buffer_load_dword v68, off, s[56:59], 0 ; 4-byte Folded Reload
	buffer_load_dword v69, off, s[56:59], 0 offset:4 ; 4-byte Folded Reload
	v_add_f64 v[6:7], v[18:19], v[12:13]
	v_add_f64 v[12:13], v[4:5], v[48:49]
	s_waitcnt vmcnt(2)
	v_add_f64 v[14:15], v[241:242], -v[14:15]
	s_waitcnt vmcnt(0)
	v_add_f64 v[68:69], v[237:238], -v[68:69]
	v_add_f64 v[14:15], v[0:1], v[14:15]
	v_add_f64 v[0:1], v[0:1], v[24:25]
	v_add_f64 v[24:25], v[204:205], -v[104:105]
	v_add_f64 v[14:15], v[68:69], v[14:15]
	v_add_f64 v[0:1], v[26:27], v[0:1]
	;; [unrolled: 3-line block ×3, first 2 shown]
	v_add_f64 v[0:1], v[24:25], v[0:1]
	v_add_f64 v[24:25], v[206:207], -v[110:111]
	v_add_f64 v[14:15], v[28:29], v[14:15]
	v_add_f64 v[30:31], v[30:31], v[2:3]
	;; [unrolled: 1-line block ×3, first 2 shown]
	buffer_load_dword v16, off, s[56:59], 0 offset:16 ; 4-byte Folded Reload
	v_add_f64 v[0:1], v[26:27], v[0:1]
	v_add_f64 v[28:29], v[86:87], v[208:209]
	v_add_f64 v[26:27], v[196:197], -v[118:119]
	v_add_f64 v[118:119], v[227:228], v[216:217]
	v_add_f64 v[32:33], v[32:33], v[14:15]
	;; [unrolled: 1-line block ×8, first 2 shown]
	s_waitcnt vmcnt(0)
	v_lshlrev_b32_e32 v16, 4, v16
	ds_write_b128 v16, v[12:15]
	ds_write_b128 v16, v[8:11] offset:16
	ds_write_b128 v16, v[4:7] offset:32
	;; [unrolled: 1-line block ×12, first 2 shown]
.LBB0_7:
	s_or_b64 exec, exec, s[4:5]
	s_waitcnt vmcnt(0) lgkmcnt(0)
	s_barrier
	ds_read_b128 v[20:23], v255
	ds_read_b128 v[24:27], v255 offset:2912
	ds_read_b128 v[40:43], v255 offset:13104
	;; [unrolled: 1-line block ×7, first 2 shown]
	s_movk_i32 s2, 0x5b
	v_cmp_gt_u16_e64 s[2:3], s2, v254
	s_and_saveexec_b64 s[4:5], s[2:3]
	s_cbranch_execz .LBB0_9
; %bb.8:
	ds_read_b128 v[52:55], v255 offset:11648
	ds_read_b128 v[56:59], v255 offset:24752
.LBB0_9:
	s_or_b64 exec, exec, s[4:5]
	s_movk_i32 s4, 0xb6
	v_add_co_u32_e32 v150, vcc, s4, v254
	v_addc_co_u32_e64 v151, s[4:5], 0, 0, vcc
	s_movk_i32 s4, 0x16c
	v_add_co_u32_e32 v148, vcc, s4, v254
	v_addc_co_u32_e64 v149, s[4:5], 0, 0, vcc
	s_movk_i32 s16, 0x4f
	s_movk_i32 s4, 0x222
	v_mul_lo_u16_sdwa v1, v254, s16 dst_sel:DWORD dst_unused:UNUSED_PAD src0_sel:BYTE_0 src1_sel:DWORD
	v_add_co_u32_e32 v0, vcc, s4, v254
	v_lshrrev_b16_e32 v1, 10, v1
	s_movk_i32 s4, 0x4ec5
	v_mul_lo_u16_e32 v2, 13, v1
	v_mul_u32_u24_sdwa v61, v150, s4 dst_sel:DWORD dst_unused:UNUSED_PAD src0_sel:WORD_0 src1_sel:DWORD
	v_add_u16_e32 v7, 0x2d8, v254
	v_sub_u16_e32 v2, v254, v2
	v_lshrrev_b32_e32 v4, 18, v61
	v_mul_u32_u24_e32 v8, 0x4ec5, v7
	v_and_b32_e32 v2, 0xff, v2
	v_mul_lo_u16_e32 v5, 13, v4
	v_lshrrev_b32_e32 v196, 18, v8
	v_lshlrev_b32_e32 v3, 4, v2
	v_sub_u16_e32 v5, v150, v5
	v_mul_u32_u24_sdwa v60, v148, s4 dst_sel:DWORD dst_unused:UNUSED_PAD src0_sel:WORD_0 src1_sel:DWORD
	v_mul_lo_u16_e32 v8, 13, v196
	v_lshlrev_b32_e32 v6, 4, v5
	global_load_dwordx4 v[225:228], v3, s[14:15]
	global_load_dwordx4 v[214:217], v6, s[14:15]
	v_lshrrev_b32_e32 v3, 18, v60
	v_sub_u16_e32 v197, v7, v8
	v_mul_lo_u16_e32 v6, 13, v3
	v_lshlrev_b32_e32 v7, 4, v197
	v_mul_u32_u24_sdwa v12, v0, s4 dst_sel:DWORD dst_unused:UNUSED_PAD src0_sel:WORD_0 src1_sel:DWORD
	v_sub_u16_e32 v6, v148, v6
	global_load_dwordx4 v[8:11], v7, s[14:15]
	v_lshrrev_b32_e32 v62, 18, v12
	v_lshlrev_b32_e32 v7, 4, v6
	v_mul_lo_u16_e32 v12, 13, v62
	v_sub_u16_e32 v0, v0, v12
	global_load_dwordx4 v[12:15], v7, s[14:15]
	v_lshlrev_b32_e32 v7, 4, v0
	global_load_dwordx4 v[16:19], v7, s[14:15]
	v_mad_legacy_u16 v0, v62, 26, v0
	s_load_dwordx4 s[8:11], s[10:11], 0x0
	s_waitcnt vmcnt(0) lgkmcnt(0)
	s_barrier
	v_mul_u32_u24_e32 v1, 26, v1
	v_add_lshl_u32 v198, v1, v2, 4
	v_mad_legacy_u16 v1, v4, 26, v5
	v_mad_legacy_u16 v2, v3, 26, v6
	v_lshlrev_b32_e32 v211, 4, v1
	v_lshlrev_b32_e32 v210, 4, v2
	v_lshlrev_b32_e32 v199, 4, v0
	v_mul_f64 v[66:67], v[42:43], v[227:228]
	v_mul_f64 v[68:69], v[40:41], v[227:228]
	;; [unrolled: 1-line block ×6, first 2 shown]
	v_fma_f64 v[40:41], v[40:41], v[225:226], -v[66:67]
	v_fma_f64 v[42:43], v[42:43], v[225:226], v[68:69]
	v_mul_f64 v[74:75], v[50:51], v[14:15]
	v_mul_f64 v[76:77], v[48:49], v[14:15]
	;; [unrolled: 1-line block ×3, first 2 shown]
	v_fma_f64 v[56:57], v[56:57], v[8:9], -v[62:63]
	buffer_store_dword v8, off, s[56:59], 0 offset:20 ; 4-byte Folded Spill
	s_nop 0
	buffer_store_dword v9, off, s[56:59], 0 offset:24 ; 4-byte Folded Spill
	buffer_store_dword v10, off, s[56:59], 0 offset:28 ; 4-byte Folded Spill
	;; [unrolled: 1-line block ×3, first 2 shown]
	v_mul_f64 v[80:81], v[44:45], v[18:19]
	v_fma_f64 v[62:63], v[36:37], v[214:215], -v[70:71]
	v_add_f64 v[36:37], v[20:21], -v[40:41]
	v_fma_f64 v[48:49], v[48:49], v[12:13], -v[74:75]
	buffer_store_dword v12, off, s[56:59], 0 offset:36 ; 4-byte Folded Spill
	s_nop 0
	buffer_store_dword v13, off, s[56:59], 0 offset:40 ; 4-byte Folded Spill
	buffer_store_dword v14, off, s[56:59], 0 offset:44 ; 4-byte Folded Spill
	;; [unrolled: 1-line block ×3, first 2 shown]
	v_fma_f64 v[66:67], v[44:45], v[16:17], -v[78:79]
	buffer_store_dword v16, off, s[56:59], 0 offset:52 ; 4-byte Folded Spill
	s_nop 0
	buffer_store_dword v17, off, s[56:59], 0 offset:56 ; 4-byte Folded Spill
	buffer_store_dword v18, off, s[56:59], 0 offset:60 ; 4-byte Folded Spill
	;; [unrolled: 1-line block ×3, first 2 shown]
	v_add_f64 v[104:105], v[52:53], -v[56:57]
	v_add_f64 v[40:41], v[24:25], -v[62:63]
	v_fma_f64 v[20:21], v[20:21], 2.0, -v[36:37]
	v_add_f64 v[44:45], v[28:29], -v[48:49]
	v_add_f64 v[48:49], v[32:33], -v[66:67]
	v_fma_f64 v[24:25], v[24:25], 2.0, -v[40:41]
	v_fma_f64 v[28:29], v[28:29], 2.0, -v[44:45]
	v_fma_f64 v[32:33], v[32:33], 2.0, -v[48:49]
	v_fma_f64 v[58:59], v[58:59], v[8:9], v[64:65]
	v_fma_f64 v[64:65], v[38:39], v[214:215], v[72:73]
	v_add_f64 v[38:39], v[22:23], -v[42:43]
	v_fma_f64 v[50:51], v[50:51], v[12:13], v[76:77]
	v_fma_f64 v[68:69], v[46:47], v[16:17], v[80:81]
	v_add_f64 v[106:107], v[54:55], -v[58:59]
	v_add_f64 v[42:43], v[26:27], -v[64:65]
	v_fma_f64 v[22:23], v[22:23], 2.0, -v[38:39]
	v_add_f64 v[46:47], v[30:31], -v[50:51]
	v_add_f64 v[50:51], v[34:35], -v[68:69]
	v_fma_f64 v[26:27], v[26:27], 2.0, -v[42:43]
	v_fma_f64 v[30:31], v[30:31], 2.0, -v[46:47]
	;; [unrolled: 1-line block ×3, first 2 shown]
	ds_write_b128 v198, v[36:39] offset:208
	ds_write_b128 v198, v[20:23]
	ds_write_b128 v211, v[24:27]
	ds_write_b128 v211, v[40:43] offset:208
	ds_write_b128 v210, v[28:31]
	ds_write_b128 v210, v[44:47] offset:208
	;; [unrolled: 2-line block ×3, first 2 shown]
	s_and_saveexec_b64 s[4:5], s[2:3]
	s_cbranch_execz .LBB0_11
; %bb.10:
	v_fma_f64 v[22:23], v[54:55], 2.0, -v[106:107]
	v_fma_f64 v[20:21], v[52:53], 2.0, -v[104:105]
	v_mad_legacy_u16 v0, v196, 26, v197
	v_lshlrev_b32_e32 v0, 4, v0
	ds_write_b128 v0, v[20:23]
	ds_write_b128 v0, v[104:107] offset:208
.LBB0_11:
	s_or_b64 exec, exec, s[4:5]
	v_lshrrev_b32_e32 v2, 19, v61
	v_mul_lo_u16_e32 v3, 26, v2
	v_sub_u16_e32 v3, v150, v3
	v_lshlrev_b16_e32 v4, 5, v3
	v_add_co_u32_e32 v20, vcc, s14, v4
	v_lshrrev_b32_e32 v4, 19, v60
	v_mul_lo_u16_sdwa v0, v254, s16 dst_sel:DWORD dst_unused:UNUSED_PAD src0_sel:BYTE_0 src1_sel:DWORD
	v_mul_lo_u16_e32 v6, 26, v4
	v_lshrrev_b16_e32 v0, 11, v0
	v_mov_b32_e32 v5, s15
	v_sub_u16_e32 v6, v148, v6
	v_mul_lo_u16_e32 v1, 26, v0
	v_addc_co_u32_e32 v21, vcc, 0, v5, vcc
	v_lshlrev_b16_e32 v7, 5, v6
	s_waitcnt vmcnt(0) lgkmcnt(0)
	s_barrier
	global_load_dwordx4 v[8:11], v[20:21], off offset:224
	global_load_dwordx4 v[48:51], v[20:21], off offset:208
	v_add_co_u32_e32 v20, vcc, s14, v7
	v_sub_u16_e32 v1, v254, v1
	v_addc_co_u32_e32 v21, vcc, 0, v5, vcc
	v_and_b32_e32 v1, 0xff, v1
	global_load_dwordx4 v[12:15], v[20:21], off offset:224
	global_load_dwordx4 v[16:19], v[20:21], off offset:208
	v_lshlrev_b32_e32 v5, 5, v1
	global_load_dwordx4 v[40:43], v5, s[14:15] offset:208
	global_load_dwordx4 v[56:59], v5, s[14:15] offset:224
	ds_read_b128 v[20:23], v255
	ds_read_b128 v[24:27], v255 offset:2912
	ds_read_b128 v[28:31], v255 offset:17472
	ds_read_b128 v[32:35], v255 offset:20384
	ds_read_b128 v[36:39], v255 offset:8736
	ds_read_b128 v[44:47], v255 offset:5824
	ds_read_b128 v[68:71], v255 offset:11648
	ds_read_b128 v[72:75], v255 offset:14560
	ds_read_b128 v[76:79], v255 offset:23296
	s_waitcnt vmcnt(0) lgkmcnt(0)
	s_barrier
	s_mov_b32 s4, 0xe8584caa
	s_mov_b32 s5, 0x3febb67a
	;; [unrolled: 1-line block ×4, first 2 shown]
	s_movk_i32 s18, 0x4e
	v_mul_u32_u24_e32 v0, 0x4e, v0
	v_mad_legacy_u16 v2, v2, s18, v3
	v_mad_legacy_u16 v3, v4, s18, v6
	v_add_lshl_u32 v235, v0, v1, 4
	v_lshlrev_b32_e32 v219, 4, v2
	v_lshlrev_b32_e32 v218, 4, v3
	v_mul_f64 v[84:85], v[34:35], v[10:11]
	v_mul_f64 v[86:87], v[32:33], v[10:11]
	;; [unrolled: 1-line block ×10, first 2 shown]
	v_fma_f64 v[32:33], v[32:33], v[8:9], -v[84:85]
	buffer_store_dword v8, off, s[56:59], 0 offset:68 ; 4-byte Folded Spill
	s_nop 0
	buffer_store_dword v9, off, s[56:59], 0 offset:72 ; 4-byte Folded Spill
	buffer_store_dword v10, off, s[56:59], 0 offset:76 ; 4-byte Folded Spill
	;; [unrolled: 1-line block ×3, first 2 shown]
	v_fma_f64 v[76:77], v[76:77], v[12:13], -v[108:109]
	v_fma_f64 v[72:73], v[72:73], v[16:17], -v[88:89]
	buffer_store_dword v16, off, s[56:59], 0 offset:100 ; 4-byte Folded Spill
	s_nop 0
	buffer_store_dword v17, off, s[56:59], 0 offset:104 ; 4-byte Folded Spill
	buffer_store_dword v18, off, s[56:59], 0 offset:108 ; 4-byte Folded Spill
	;; [unrolled: 1-line block ×4, first 2 shown]
	s_nop 0
	buffer_store_dword v13, off, s[56:59], 0 offset:88 ; 4-byte Folded Spill
	buffer_store_dword v14, off, s[56:59], 0 offset:92 ; 4-byte Folded Spill
	;; [unrolled: 1-line block ×3, first 2 shown]
	v_fma_f64 v[36:37], v[36:37], v[40:41], -v[112:113]
	buffer_store_dword v40, off, s[56:59], 0 offset:116 ; 4-byte Folded Spill
	s_nop 0
	buffer_store_dword v41, off, s[56:59], 0 offset:120 ; 4-byte Folded Spill
	buffer_store_dword v42, off, s[56:59], 0 offset:124 ; 4-byte Folded Spill
	;; [unrolled: 1-line block ×3, first 2 shown]
	v_mul_f64 v[116:117], v[30:31], v[58:59]
	v_mul_f64 v[118:119], v[28:29], v[58:59]
	v_fma_f64 v[68:69], v[68:69], v[48:49], -v[80:81]
	v_fma_f64 v[70:71], v[70:71], v[48:49], v[82:83]
	v_add_f64 v[112:113], v[20:21], v[36:37]
	v_fma_f64 v[80:81], v[28:29], v[56:57], -v[116:117]
	v_fma_f64 v[82:83], v[30:31], v[56:57], v[118:119]
	v_add_f64 v[28:29], v[24:25], v[68:69]
	v_add_f64 v[30:31], v[68:69], v[32:33]
	v_add_f64 v[88:89], v[68:69], -v[32:33]
	v_add_f64 v[68:69], v[44:45], v[72:73]
	v_add_f64 v[120:121], v[36:37], -v[80:81]
	v_add_f64 v[28:29], v[28:29], v[32:33]
	v_fma_f64 v[34:35], v[34:35], v[8:9], v[86:87]
	v_add_f64 v[86:87], v[26:27], v[70:71]
	v_fma_f64 v[74:75], v[74:75], v[16:17], v[90:91]
	v_fma_f64 v[78:79], v[78:79], v[12:13], v[110:111]
	v_add_f64 v[90:91], v[72:73], v[76:77]
	v_fma_f64 v[38:39], v[38:39], v[40:41], v[114:115]
	v_add_f64 v[114:115], v[36:37], v[80:81]
	v_add_f64 v[84:85], v[70:71], -v[34:35]
	v_add_f64 v[70:71], v[70:71], v[34:35]
	v_fma_f64 v[36:37], v[30:31], -0.5, v[24:25]
	v_add_f64 v[108:109], v[46:47], v[74:75]
	v_add_f64 v[110:111], v[74:75], -v[78:79]
	v_add_f64 v[74:75], v[74:75], v[78:79]
	v_add_f64 v[116:117], v[38:39], -v[82:83]
	v_add_f64 v[118:119], v[22:23], v[38:39]
	v_add_f64 v[38:39], v[38:39], v[82:83]
	;; [unrolled: 1-line block ×3, first 2 shown]
	v_fma_f64 v[68:69], v[114:115], -0.5, v[20:21]
	v_add_f64 v[30:31], v[86:87], v[34:35]
	v_fma_f64 v[86:87], v[70:71], -0.5, v[26:27]
	v_add_f64 v[72:73], v[72:73], -v[76:77]
	v_fma_f64 v[76:77], v[90:91], -0.5, v[44:45]
	v_fma_f64 v[74:75], v[74:75], -0.5, v[46:47]
	;; [unrolled: 1-line block ×3, first 2 shown]
	v_add_f64 v[20:21], v[112:113], v[80:81]
	v_add_f64 v[22:23], v[118:119], v[82:83]
	v_fma_f64 v[44:45], v[116:117], s[4:5], v[68:69]
	v_fma_f64 v[68:69], v[116:117], s[16:17], v[68:69]
	;; [unrolled: 1-line block ×8, first 2 shown]
	v_add_f64 v[26:27], v[108:109], v[78:79]
	v_fma_f64 v[108:109], v[110:111], s[4:5], v[76:77]
	v_fma_f64 v[124:125], v[110:111], s[16:17], v[76:77]
	;; [unrolled: 1-line block ×4, first 2 shown]
	ds_write_b128 v235, v[20:23]
	ds_write_b128 v235, v[44:47] offset:416
	ds_write_b128 v235, v[68:71] offset:832
	ds_write_b128 v219, v[28:31]
	ds_write_b128 v219, v[32:35] offset:416
	ds_write_b128 v219, v[36:39] offset:832
	;; [unrolled: 3-line block ×3, first 2 shown]
	s_waitcnt vmcnt(0) lgkmcnt(0)
	s_barrier
	ds_read_b128 v[112:115], v255
	ds_read_b128 v[140:143], v255 offset:3744
	ds_read_b128 v[136:139], v255 offset:7488
	;; [unrolled: 1-line block ×6, first 2 shown]
	v_cmp_gt_u16_e64 s[4:5], 52, v254
                                        ; implicit-def: $vgpr116_vgpr117
	s_and_saveexec_b64 s[16:17], s[4:5]
	s_cbranch_execz .LBB0_13
; %bb.12:
	ds_read_b128 v[108:111], v255 offset:2912
	ds_read_b128 v[124:127], v255 offset:6656
	;; [unrolled: 1-line block ×7, first 2 shown]
.LBB0_13:
	s_or_b64 exec, exec, s[16:17]
	v_lshrrev_b16_e32 v1, 1, v150
	v_mul_u32_u24_e32 v1, 0x6907, v1
	v_lshrrev_b32_e32 v1, 20, v1
	v_mul_lo_u16_e32 v1, 0x4e, v1
	v_sub_u16_e32 v1, v150, v1
	v_mul_lo_u16_e32 v2, 0x60, v1
	v_lshrrev_b16_e32 v0, 1, v254
	v_mov_b32_e32 v3, s15
	v_add_co_u32_e32 v20, vcc, s14, v2
	v_and_b32_e32 v0, 0x7f, v0
	v_addc_co_u32_e32 v21, vcc, 0, v3, vcc
	v_mul_lo_u16_e32 v0, 0xd3, v0
	global_load_dwordx4 v[2:5], v[20:21], off offset:1056
	global_load_dwordx4 v[10:13], v[20:21], off offset:1040
	global_load_dwordx4 v[6:9], v[20:21], off offset:1088
	global_load_dwordx4 v[14:17], v[20:21], off offset:1072
	v_lshrrev_b16_e32 v28, 13, v0
	v_mul_lo_u16_e32 v0, 0x4e, v28
	v_sub_u16_e32 v0, v254, v0
	v_mov_b32_e32 v23, s15
	v_and_b32_e32 v0, 0xff, v0
	s_movk_i32 s16, 0x60
	v_mov_b32_e32 v22, s14
	v_mad_u64_u32 v[22:23], s[16:17], v0, s16, v[22:23]
	global_load_dwordx4 v[186:189], v[20:21], off offset:1104
	global_load_dwordx4 v[182:185], v[20:21], off offset:1120
	;; [unrolled: 1-line block ×8, first 2 shown]
	s_mov_b32 s18, 0x37e14327
	s_mov_b32 s16, 0x36b3c0b5
	;; [unrolled: 1-line block ×20, first 2 shown]
	v_lshlrev_b32_e32 v236, 4, v1
	s_waitcnt vmcnt(11) lgkmcnt(4)
	v_mul_f64 v[24:25], v[106:107], v[4:5]
	s_waitcnt vmcnt(10)
	v_mul_f64 v[20:21], v[126:127], v[12:13]
	s_waitcnt vmcnt(8) lgkmcnt(3)
	v_mul_f64 v[29:30], v[102:103], v[16:17]
	s_waitcnt lgkmcnt(2)
	v_mul_f64 v[33:34], v[98:99], v[8:9]
	v_mul_f64 v[22:23], v[124:125], v[12:13]
	s_waitcnt vmcnt(7) lgkmcnt(1)
	v_mul_f64 v[37:38], v[94:95], v[188:189]
	v_mul_f64 v[26:27], v[104:105], v[4:5]
	;; [unrolled: 1-line block ×5, first 2 shown]
	v_fma_f64 v[20:21], v[124:125], v[10:11], -v[20:21]
	buffer_store_dword v10, off, s[56:59], 0 offset:164 ; 4-byte Folded Spill
	s_nop 0
	buffer_store_dword v11, off, s[56:59], 0 offset:168 ; 4-byte Folded Spill
	buffer_store_dword v12, off, s[56:59], 0 offset:172 ; 4-byte Folded Spill
	buffer_store_dword v13, off, s[56:59], 0 offset:176 ; 4-byte Folded Spill
	v_fma_f64 v[24:25], v[104:105], v[2:3], -v[24:25]
	buffer_store_dword v2, off, s[56:59], 0 offset:132 ; 4-byte Folded Spill
	s_nop 0
	buffer_store_dword v3, off, s[56:59], 0 offset:136 ; 4-byte Folded Spill
	buffer_store_dword v4, off, s[56:59], 0 offset:140 ; 4-byte Folded Spill
	buffer_store_dword v5, off, s[56:59], 0 offset:144 ; 4-byte Folded Spill
	;; [unrolled: 6-line block ×5, first 2 shown]
	s_waitcnt vmcnt(26) lgkmcnt(0)
	v_mul_f64 v[46:47], v[118:119], v[184:185]
	v_mul_f64 v[152:153], v[116:117], v[184:185]
	s_waitcnt vmcnt(25)
	v_mul_f64 v[154:155], v[142:143], v[90:91]
	v_mul_f64 v[156:157], v[140:141], v[90:91]
	s_waitcnt vmcnt(24)
	;; [unrolled: 3-line block ×3, first 2 shown]
	v_mul_f64 v[170:171], v[134:135], v[78:79]
	v_mul_f64 v[172:173], v[132:133], v[78:79]
	v_fma_f64 v[116:117], v[116:117], v[182:183], -v[46:47]
	buffer_store_dword v182, off, s[56:59], 0 offset:196 ; 4-byte Folded Spill
	s_nop 0
	buffer_store_dword v183, off, s[56:59], 0 offset:200 ; 4-byte Folded Spill
	buffer_store_dword v184, off, s[56:59], 0 offset:204 ; 4-byte Folded Spill
	;; [unrolled: 1-line block ×3, first 2 shown]
	s_waitcnt vmcnt(24)
	v_mul_f64 v[174:175], v[146:147], v[82:83]
	v_mul_f64 v[176:177], v[144:145], v[82:83]
	;; [unrolled: 1-line block ×6, first 2 shown]
	v_fma_f64 v[29:30], v[140:141], v[88:89], -v[154:155]
	v_fma_f64 v[33:34], v[136:137], v[84:85], -v[158:159]
	;; [unrolled: 1-line block ×5, first 2 shown]
	v_fma_f64 v[22:23], v[126:127], v[10:11], v[22:23]
	v_fma_f64 v[26:27], v[106:107], v[2:3], v[26:27]
	;; [unrolled: 1-line block ×8, first 2 shown]
	v_fma_f64 v[44:45], v[144:145], v[80:81], -v[174:175]
	v_fma_f64 v[94:95], v[146:147], v[80:81], v[176:177]
	v_fma_f64 v[102:103], v[134:135], v[76:77], v[172:173]
	;; [unrolled: 1-line block ×3, first 2 shown]
	v_add_f64 v[120:121], v[29:30], v[44:45]
	v_add_f64 v[122:123], v[31:32], v[94:95]
	v_add_f64 v[29:30], v[29:30], -v[44:45]
	v_add_f64 v[31:32], v[31:32], -v[94:95]
	v_add_f64 v[44:45], v[33:34], v[100:101]
	v_add_f64 v[94:95], v[35:36], v[102:103]
	v_add_f64 v[33:34], v[33:34], -v[100:101]
	v_add_f64 v[35:36], v[35:36], -v[102:103]
	;; [unrolled: 4-line block ×4, first 2 shown]
	v_add_f64 v[120:121], v[120:121], -v[100:101]
	v_add_f64 v[122:123], v[122:123], -v[102:103]
	;; [unrolled: 1-line block ×4, first 2 shown]
	v_add_f64 v[132:133], v[96:97], v[33:34]
	v_add_f64 v[134:135], v[98:99], v[35:36]
	v_add_f64 v[136:137], v[96:97], -v[33:34]
	v_add_f64 v[138:139], v[98:99], -v[35:36]
	;; [unrolled: 1-line block ×3, first 2 shown]
	v_add_f64 v[100:101], v[100:101], v[104:105]
	v_add_f64 v[102:103], v[102:103], v[106:107]
	v_add_f64 v[96:97], v[29:30], -v[96:97]
	v_add_f64 v[98:99], v[31:32], -v[98:99]
	;; [unrolled: 1-line block ×3, first 2 shown]
	v_add_f64 v[104:105], v[132:133], v[29:30]
	v_add_f64 v[106:107], v[134:135], v[31:32]
	v_mul_f64 v[120:121], v[120:121], s[18:19]
	v_mul_f64 v[122:123], v[122:123], s[18:19]
	;; [unrolled: 1-line block ×6, first 2 shown]
	v_add_f64 v[29:30], v[112:113], v[100:101]
	v_add_f64 v[31:32], v[114:115], v[102:103]
	v_mul_f64 v[114:115], v[35:36], s[20:21]
	v_mul_f64 v[112:113], v[33:34], s[20:21]
	v_fma_f64 v[44:45], v[44:45], s[16:17], v[120:121]
	v_fma_f64 v[94:95], v[94:95], s[16:17], v[122:123]
	v_fma_f64 v[132:133], v[128:129], s[26:27], -v[132:133]
	v_fma_f64 v[134:135], v[130:131], s[26:27], -v[134:135]
	v_fma_f64 v[100:101], v[100:101], s[24:25], v[29:30]
	v_fma_f64 v[102:103], v[102:103], s[24:25], v[31:32]
	v_fma_f64 v[120:121], v[128:129], s[30:31], -v[120:121]
	v_fma_f64 v[122:123], v[130:131], s[30:31], -v[122:123]
	;; [unrolled: 4-line block ×3, first 2 shown]
	v_fma_f64 v[33:34], v[33:34], s[20:21], -v[136:137]
	v_fma_f64 v[96:97], v[96:97], s[36:37], -v[112:113]
	v_add_f64 v[112:113], v[44:45], v[100:101]
	v_add_f64 v[94:95], v[94:95], v[102:103]
	;; [unrolled: 1-line block ×5, first 2 shown]
	v_fma_f64 v[128:129], v[104:105], s[28:29], v[128:129]
	v_fma_f64 v[134:135], v[106:107], s[28:29], v[98:99]
	;; [unrolled: 1-line block ×4, first 2 shown]
	v_add_f64 v[122:123], v[122:123], v[102:103]
	v_fma_f64 v[136:137], v[104:105], s[28:29], v[96:97]
	v_fma_f64 v[102:103], v[104:105], s[28:29], v[33:34]
	;; [unrolled: 1-line block ×3, first 2 shown]
	v_add_f64 v[35:36], v[94:95], -v[128:129]
	v_add_f64 v[44:45], v[134:135], v[120:121]
	v_add_f64 v[96:97], v[114:115], -v[100:101]
	v_add_f64 v[100:101], v[100:101], v[114:115]
	;; [unrolled: 2-line block ×3, first 2 shown]
	v_add_f64 v[94:95], v[20:21], v[116:117]
	v_add_f64 v[120:121], v[22:23], v[118:119]
	v_add_f64 v[20:21], v[20:21], -v[116:117]
	v_add_f64 v[22:23], v[22:23], -v[118:119]
	v_add_f64 v[116:117], v[24:25], v[37:38]
	v_add_f64 v[118:119], v[26:27], v[92:93]
	v_add_f64 v[46:47], v[122:123], -v[136:137]
	v_add_f64 v[106:107], v[136:137], v[122:123]
	v_add_f64 v[24:25], v[24:25], -v[37:38]
	v_add_f64 v[26:27], v[26:27], -v[92:93]
	v_add_f64 v[37:38], v[124:125], v[178:179]
	v_add_f64 v[92:93], v[126:127], v[180:181]
	v_add_f64 v[122:123], v[178:179], -v[124:125]
	v_add_f64 v[124:125], v[180:181], -v[126:127]
	v_add_f64 v[126:127], v[116:117], v[94:95]
	v_add_f64 v[128:129], v[118:119], v[120:121]
	;; [unrolled: 1-line block ×4, first 2 shown]
	v_add_f64 v[102:103], v[132:133], -v[102:103]
	v_add_f64 v[112:113], v[112:113], -v[130:131]
	;; [unrolled: 1-line block ×8, first 2 shown]
	v_add_f64 v[94:95], v[122:123], v[24:25]
	v_add_f64 v[136:137], v[124:125], v[26:27]
	v_add_f64 v[138:139], v[122:123], -v[24:25]
	v_add_f64 v[140:141], v[124:125], -v[26:27]
	v_add_f64 v[37:38], v[37:38], v[126:127]
	v_add_f64 v[126:127], v[92:93], v[128:129]
	v_add_f64 v[26:27], v[26:27], -v[22:23]
	v_add_f64 v[24:25], v[24:25], -v[20:21]
	;; [unrolled: 1-line block ×4, first 2 shown]
	v_add_f64 v[128:129], v[94:95], v[20:21]
	v_add_f64 v[22:23], v[136:137], v[22:23]
	;; [unrolled: 1-line block ×4, first 2 shown]
	v_mul_f64 v[20:21], v[134:135], s[18:19]
	v_mul_f64 v[108:109], v[120:121], s[18:19]
	;; [unrolled: 1-line block ×8, first 2 shown]
	v_fma_f64 v[37:38], v[37:38], s[24:25], v[92:93]
	v_fma_f64 v[126:127], v[126:127], s[24:25], v[94:95]
	;; [unrolled: 1-line block ×4, first 2 shown]
	v_fma_f64 v[110:111], v[130:131], s[26:27], -v[110:111]
	v_fma_f64 v[120:121], v[132:133], s[26:27], -v[120:121]
	;; [unrolled: 1-line block ×4, first 2 shown]
	v_fma_f64 v[130:131], v[122:123], s[34:35], v[134:135]
	v_fma_f64 v[132:133], v[124:125], s[34:35], v[136:137]
	v_fma_f64 v[124:125], v[124:125], s[36:37], -v[140:141]
	v_fma_f64 v[26:27], v[26:27], s[20:21], -v[136:137]
	;; [unrolled: 1-line block ×4, first 2 shown]
	v_add_f64 v[136:137], v[20:21], v[37:38]
	v_add_f64 v[20:21], v[116:117], v[37:38]
	;; [unrolled: 1-line block ×4, first 2 shown]
	v_fma_f64 v[138:139], v[22:23], s[28:29], v[124:125]
	v_fma_f64 v[142:143], v[22:23], s[28:29], v[26:27]
	;; [unrolled: 1-line block ×3, first 2 shown]
	v_add_f64 v[24:25], v[118:119], v[126:127]
	v_fma_f64 v[26:27], v[128:129], s[28:29], v[130:131]
	v_fma_f64 v[22:23], v[22:23], s[28:29], v[132:133]
	v_add_f64 v[108:109], v[108:109], v[126:127]
	v_fma_f64 v[140:141], v[128:129], s[28:29], v[122:123]
	v_add_f64 v[120:121], v[138:139], v[136:137]
	v_add_f64 v[124:125], v[110:111], -v[142:143]
	v_add_f64 v[126:127], v[144:145], v[134:135]
	v_add_f64 v[128:129], v[142:143], v[110:111]
	;; [unrolled: 1-line block ×3, first 2 shown]
	v_add_f64 v[2:3], v[20:21], -v[22:23]
	v_add_f64 v[130:131], v[134:135], -v[144:145]
	;; [unrolled: 1-line block ×4, first 2 shown]
	v_add_f64 v[134:135], v[140:141], v[108:109]
	buffer_store_dword v2, off, s[56:59], 0 ; 4-byte Folded Spill
	s_nop 0
	buffer_store_dword v3, off, s[56:59], 0 offset:4 ; 4-byte Folded Spill
	buffer_store_dword v4, off, s[56:59], 0 offset:8 ; 4-byte Folded Spill
	;; [unrolled: 1-line block ×3, first 2 shown]
	v_mul_u32_u24_e32 v2, 0x222, v28
	v_add_lshl_u32 v220, v2, v0, 4
	s_waitcnt vmcnt(0)
	s_barrier
	ds_write_b128 v220, v[29:32]
	ds_write_b128 v220, v[33:36] offset:1248
	ds_write_b128 v220, v[44:47] offset:2496
	ds_write_b128 v220, v[96:99] offset:3744
	ds_write_b128 v220, v[100:103] offset:4992
	ds_write_b128 v220, v[104:107] offset:6240
	ds_write_b128 v220, v[112:115] offset:7488
	s_and_saveexec_b64 s[16:17], s[4:5]
	s_cbranch_execz .LBB0_15
; %bb.14:
	v_add_f64 v[24:25], v[24:25], -v[26:27]
	v_add_f64 v[22:23], v[22:23], v[20:21]
	ds_write_b128 v236, v[92:95] offset:17472
	ds_write_b128 v236, v[120:123] offset:19968
	;; [unrolled: 1-line block ×6, first 2 shown]
	buffer_load_dword v0, off, s[56:59], 0  ; 4-byte Folded Reload
	buffer_load_dword v1, off, s[56:59], 0 offset:4 ; 4-byte Folded Reload
	buffer_load_dword v2, off, s[56:59], 0 offset:8 ; 4-byte Folded Reload
	;; [unrolled: 1-line block ×3, first 2 shown]
	s_waitcnt vmcnt(0)
	ds_write_b128 v236, v[0:3] offset:24960
.LBB0_15:
	s_or_b64 exec, exec, s[16:17]
	v_lshlrev_b32_e32 v0, 5, v254
	v_mov_b32_e32 v1, s15
	v_add_co_u32_e32 v0, vcc, s14, v0
	v_addc_co_u32_e32 v2, vcc, 0, v1, vcc
	s_movk_i32 s15, 0x2150
	v_add_co_u32_e32 v20, vcc, s15, v0
	v_addc_co_u32_e32 v21, vcc, 0, v2, vcc
	s_movk_i32 s16, 0x2000
	v_add_co_u32_e32 v22, vcc, s16, v0
	v_addc_co_u32_e32 v23, vcc, 0, v2, vcc
	s_waitcnt lgkmcnt(0)
	s_barrier
	global_load_dwordx4 v[92:95], v[22:23], off offset:336
	global_load_dwordx4 v[96:99], v[20:21], off offset:16
	v_lshlrev_b64 v[20:21], 5, v[150:151]
	s_mov_b32 s17, 0xbfebb67a
	v_add_co_u32_e32 v0, vcc, s14, v20
	v_addc_co_u32_e32 v2, vcc, v1, v21, vcc
	v_add_co_u32_e32 v20, vcc, s15, v0
	v_addc_co_u32_e32 v21, vcc, 0, v2, vcc
	;; [unrolled: 2-line block ×3, first 2 shown]
	global_load_dwordx4 v[104:107], v[22:23], off offset:336
	global_load_dwordx4 v[100:103], v[20:21], off offset:16
	v_lshlrev_b64 v[20:21], 5, v[148:149]
	v_add_co_u32_e32 v0, vcc, s14, v20
	v_addc_co_u32_e32 v1, vcc, v1, v21, vcc
	v_add_co_u32_e32 v20, vcc, s16, v0
	v_addc_co_u32_e32 v21, vcc, 0, v1, vcc
	global_load_dwordx4 v[112:115], v[20:21], off offset:336
	v_add_co_u32_e32 v20, vcc, s15, v0
	v_addc_co_u32_e32 v21, vcc, 0, v1, vcc
	global_load_dwordx4 v[108:111], v[20:21], off offset:16
	ds_read_b128 v[20:23], v255
	ds_read_b128 v[24:27], v255 offset:2912
	ds_read_b128 v[28:31], v255 offset:17472
	;; [unrolled: 1-line block ×8, first 2 shown]
	s_mov_b32 s14, 0xe8584caa
	s_mov_b32 s15, 0x3febb67a
	;; [unrolled: 1-line block ×3, first 2 shown]
	s_waitcnt vmcnt(5) lgkmcnt(4)
	v_mul_f64 v[144:145], v[38:39], v[94:95]
	v_mul_f64 v[146:147], v[36:37], v[94:95]
	s_waitcnt vmcnt(4)
	v_mul_f64 v[148:149], v[30:31], v[98:99]
	v_mul_f64 v[150:151], v[28:29], v[98:99]
	v_fma_f64 v[36:37], v[36:37], v[92:93], -v[144:145]
	v_fma_f64 v[38:39], v[38:39], v[92:93], v[146:147]
	v_fma_f64 v[28:29], v[28:29], v[96:97], -v[148:149]
	v_fma_f64 v[30:31], v[30:31], v[96:97], v[150:151]
	s_waitcnt vmcnt(3) lgkmcnt(2)
	v_mul_f64 v[152:153], v[118:119], v[106:107]
	s_waitcnt vmcnt(2)
	v_mul_f64 v[156:157], v[34:35], v[102:103]
	v_mul_f64 v[154:155], v[116:117], v[106:107]
	;; [unrolled: 1-line block ×3, first 2 shown]
	v_fma_f64 v[116:117], v[116:117], v[104:105], -v[152:153]
	v_fma_f64 v[32:33], v[32:33], v[100:101], -v[156:157]
	v_fma_f64 v[118:119], v[118:119], v[104:105], v[154:155]
	v_fma_f64 v[34:35], v[34:35], v[100:101], v[158:159]
	s_waitcnt vmcnt(1) lgkmcnt(1)
	v_mul_f64 v[160:161], v[138:139], v[114:115]
	v_mul_f64 v[162:163], v[136:137], v[114:115]
	v_add_f64 v[144:145], v[24:25], v[116:117]
	s_waitcnt vmcnt(0) lgkmcnt(0)
	v_mul_f64 v[164:165], v[142:143], v[110:111]
	v_mul_f64 v[166:167], v[140:141], v[110:111]
	v_add_f64 v[148:149], v[116:117], v[32:33]
	v_fma_f64 v[146:147], v[136:137], v[112:113], -v[160:161]
	v_fma_f64 v[154:155], v[138:139], v[112:113], v[162:163]
	v_add_f64 v[138:139], v[36:37], v[28:29]
	v_add_f64 v[136:137], v[20:21], v[36:37]
	v_add_f64 v[36:37], v[36:37], -v[28:29]
	v_fma_f64 v[160:161], v[140:141], v[108:109], -v[164:165]
	v_fma_f64 v[162:163], v[142:143], v[108:109], v[166:167]
	v_add_f64 v[142:143], v[38:39], -v[30:31]
	v_add_f64 v[140:141], v[22:23], v[38:39]
	v_add_f64 v[38:39], v[38:39], v[30:31]
	v_add_f64 v[156:157], v[118:119], -v[34:35]
	v_add_f64 v[158:159], v[26:27], v[118:119]
	v_add_f64 v[118:119], v[118:119], v[34:35]
	;; [unrolled: 1-line block ×4, first 2 shown]
	v_fma_f64 v[20:21], v[138:139], -0.5, v[20:21]
	v_fma_f64 v[24:25], v[148:149], -0.5, v[24:25]
	;; [unrolled: 1-line block ×3, first 2 shown]
	v_add_f64 v[116:117], v[116:117], -v[32:33]
	v_add_f64 v[164:165], v[44:45], v[146:147]
	v_add_f64 v[136:137], v[136:137], v[28:29]
	;; [unrolled: 1-line block ×3, first 2 shown]
	v_fma_f64 v[26:27], v[118:119], -0.5, v[26:27]
	v_fma_f64 v[28:29], v[150:151], -0.5, v[44:45]
	v_fma_f64 v[140:141], v[142:143], s[14:15], v[20:21]
	v_fma_f64 v[148:149], v[142:143], s[16:17], v[20:21]
	v_fma_f64 v[142:143], v[36:37], s[16:17], v[22:23]
	v_fma_f64 v[150:151], v[36:37], s[14:15], v[22:23]
	v_fma_f64 v[152:153], v[156:157], s[14:15], v[24:25]
	v_fma_f64 v[156:157], v[156:157], s[16:17], v[24:25]
	v_add_f64 v[20:21], v[154:155], -v[162:163]
	v_add_f64 v[22:23], v[46:47], v[154:155]
	v_fma_f64 v[24:25], v[166:167], -0.5, v[46:47]
	v_add_f64 v[30:31], v[146:147], -v[160:161]
	v_add_f64 v[144:145], v[144:145], v[32:33]
	v_add_f64 v[146:147], v[158:159], v[34:35]
	v_fma_f64 v[154:155], v[116:117], s[16:17], v[26:27]
	v_fma_f64 v[158:159], v[116:117], s[14:15], v[26:27]
	v_add_f64 v[160:161], v[164:165], v[160:161]
	v_fma_f64 v[164:165], v[20:21], s[14:15], v[28:29]
	v_fma_f64 v[168:169], v[20:21], s[16:17], v[28:29]
	;; [unrolled: 3-line block ×3, first 2 shown]
	ds_write_b128 v255, v[136:139]
	ds_write_b128 v255, v[140:143] offset:8736
	ds_write_b128 v255, v[148:151] offset:17472
	;; [unrolled: 1-line block ×8, first 2 shown]
	s_waitcnt lgkmcnt(0)
	s_barrier
	s_and_saveexec_b64 s[14:15], s[0:1]
	s_cbranch_execz .LBB0_17
; %bb.16:
	v_add_co_u32_e32 v20, vcc, s12, v255
	v_mov_b32_e32 v0, s13
	v_addc_co_u32_e32 v21, vcc, 0, v0, vcc
	v_add_co_u32_e32 v34, vcc, 0x6660, v20
	v_addc_co_u32_e32 v35, vcc, 0, v21, vcc
	v_add_co_u32_e32 v26, vcc, 0x6000, v20
	v_addc_co_u32_e32 v27, vcc, 0, v21, vcc
	global_load_dwordx4 v[26:29], v[26:27], off offset:1632
	ds_read_b128 v[22:25], v255
	s_movk_i32 s16, 0x7000
	s_waitcnt vmcnt(0) lgkmcnt(0)
	v_mul_f64 v[30:31], v[24:25], v[28:29]
	v_fma_f64 v[30:31], v[22:23], v[26:27], -v[30:31]
	v_mul_f64 v[22:23], v[22:23], v[28:29]
	v_fma_f64 v[32:33], v[24:25], v[26:27], v[22:23]
	global_load_dwordx4 v[26:29], v[34:35], off offset:2016
	ds_read_b128 v[22:25], v255 offset:2016
	ds_write_b128 v255, v[30:33]
	s_waitcnt vmcnt(0) lgkmcnt(1)
	v_mul_f64 v[30:31], v[24:25], v[28:29]
	v_fma_f64 v[30:31], v[22:23], v[26:27], -v[30:31]
	v_mul_f64 v[22:23], v[22:23], v[28:29]
	v_fma_f64 v[32:33], v[24:25], v[26:27], v[22:23]
	global_load_dwordx4 v[26:29], v[34:35], off offset:4032
	ds_read_b128 v[22:25], v255 offset:4032
	ds_write_b128 v255, v[30:33] offset:2016
	s_waitcnt vmcnt(0) lgkmcnt(1)
	v_mul_f64 v[30:31], v[24:25], v[28:29]
	v_fma_f64 v[30:31], v[22:23], v[26:27], -v[30:31]
	v_mul_f64 v[22:23], v[22:23], v[28:29]
	v_fma_f64 v[32:33], v[24:25], v[26:27], v[22:23]
	v_add_co_u32_e32 v26, vcc, s16, v20
	v_addc_co_u32_e32 v27, vcc, 0, v21, vcc
	global_load_dwordx4 v[26:29], v[26:27], off offset:3584
	ds_read_b128 v[22:25], v255 offset:6048
	s_mov_b32 s16, 0x8000
	ds_write_b128 v255, v[30:33] offset:4032
	v_add_co_u32_e32 v34, vcc, s16, v20
	v_addc_co_u32_e32 v35, vcc, 0, v21, vcc
	s_mov_b32 s16, 0x9000
	s_waitcnt vmcnt(0) lgkmcnt(1)
	v_mul_f64 v[30:31], v[24:25], v[28:29]
	v_fma_f64 v[30:31], v[22:23], v[26:27], -v[30:31]
	v_mul_f64 v[22:23], v[22:23], v[28:29]
	v_fma_f64 v[32:33], v[24:25], v[26:27], v[22:23]
	global_load_dwordx4 v[26:29], v[34:35], off offset:1504
	ds_read_b128 v[22:25], v255 offset:8064
	ds_write_b128 v255, v[30:33] offset:6048
	s_waitcnt vmcnt(0) lgkmcnt(1)
	v_mul_f64 v[30:31], v[24:25], v[28:29]
	v_fma_f64 v[30:31], v[22:23], v[26:27], -v[30:31]
	v_mul_f64 v[22:23], v[22:23], v[28:29]
	v_fma_f64 v[32:33], v[24:25], v[26:27], v[22:23]
	global_load_dwordx4 v[26:29], v[34:35], off offset:3520
	ds_read_b128 v[22:25], v255 offset:10080
	v_add_co_u32_e32 v34, vcc, s16, v20
	v_addc_co_u32_e32 v35, vcc, 0, v21, vcc
	s_mov_b32 s16, 0xa000
	ds_write_b128 v255, v[30:33] offset:8064
	s_waitcnt vmcnt(0) lgkmcnt(1)
	v_mul_f64 v[30:31], v[24:25], v[28:29]
	v_fma_f64 v[30:31], v[22:23], v[26:27], -v[30:31]
	v_mul_f64 v[22:23], v[22:23], v[28:29]
	v_fma_f64 v[32:33], v[24:25], v[26:27], v[22:23]
	global_load_dwordx4 v[26:29], v[34:35], off offset:1440
	ds_read_b128 v[22:25], v255 offset:12096
	ds_write_b128 v255, v[30:33] offset:10080
	s_waitcnt vmcnt(0) lgkmcnt(1)
	v_mul_f64 v[30:31], v[24:25], v[28:29]
	v_fma_f64 v[30:31], v[22:23], v[26:27], -v[30:31]
	v_mul_f64 v[22:23], v[22:23], v[28:29]
	v_fma_f64 v[32:33], v[24:25], v[26:27], v[22:23]
	global_load_dwordx4 v[26:29], v[34:35], off offset:3456
	ds_read_b128 v[22:25], v255 offset:14112
	v_add_co_u32_e32 v34, vcc, s16, v20
	v_addc_co_u32_e32 v35, vcc, 0, v21, vcc
	s_mov_b32 s16, 0xb000
	ds_write_b128 v255, v[30:33] offset:12096
	;; [unrolled: 19-line block ×3, first 2 shown]
	v_add_co_u32_e32 v20, vcc, s16, v20
	v_addc_co_u32_e32 v21, vcc, 0, v21, vcc
	s_waitcnt vmcnt(0) lgkmcnt(1)
	v_mul_f64 v[30:31], v[24:25], v[28:29]
	v_fma_f64 v[30:31], v[22:23], v[26:27], -v[30:31]
	v_mul_f64 v[22:23], v[22:23], v[28:29]
	v_fma_f64 v[32:33], v[24:25], v[26:27], v[22:23]
	global_load_dwordx4 v[26:29], v[34:35], off offset:1312
	ds_read_b128 v[22:25], v255 offset:20160
	ds_write_b128 v255, v[30:33] offset:18144
	s_waitcnt vmcnt(0) lgkmcnt(1)
	v_mul_f64 v[30:31], v[24:25], v[28:29]
	v_fma_f64 v[30:31], v[22:23], v[26:27], -v[30:31]
	v_mul_f64 v[22:23], v[22:23], v[28:29]
	v_fma_f64 v[32:33], v[24:25], v[26:27], v[22:23]
	global_load_dwordx4 v[26:29], v[34:35], off offset:3328
	ds_read_b128 v[22:25], v255 offset:22176
	ds_write_b128 v255, v[30:33] offset:20160
	;; [unrolled: 8-line block ×3, first 2 shown]
	s_waitcnt vmcnt(0) lgkmcnt(1)
	v_mul_f64 v[20:21], v[24:25], v[28:29]
	v_fma_f64 v[20:21], v[22:23], v[26:27], -v[20:21]
	v_mul_f64 v[22:23], v[22:23], v[28:29]
	v_fma_f64 v[22:23], v[24:25], v[26:27], v[22:23]
	ds_write_b128 v255, v[20:23] offset:24192
.LBB0_17:
	s_or_b64 exec, exec, s[14:15]
	s_waitcnt lgkmcnt(0)
	s_barrier
	s_and_saveexec_b64 s[14:15], s[0:1]
	s_cbranch_execz .LBB0_19
; %bb.18:
	ds_read_b128 v[136:139], v255
	ds_read_b128 v[140:143], v255 offset:2016
	ds_read_b128 v[148:151], v255 offset:4032
	;; [unrolled: 1-line block ×12, first 2 shown]
.LBB0_19:
	s_or_b64 exec, exec, s[14:15]
	s_waitcnt lgkmcnt(0)
	v_add_f64 v[237:238], v[142:143], v[134:135]
	v_add_f64 v[192:193], v[142:143], -v[134:135]
	s_mov_b32 s14, 0xe00740e9
	s_mov_b32 s34, 0x4267c47c
	;; [unrolled: 1-line block ×4, first 2 shown]
	v_add_f64 v[221:222], v[140:141], v[132:133]
	v_add_f64 v[223:224], v[140:141], -v[132:133]
	v_mul_f64 v[2:3], v[237:238], s[14:15]
	v_mul_f64 v[0:1], v[192:193], s[34:35]
	s_mov_b32 s16, 0x1ea71119
	s_mov_b32 s20, 0x42a4c3d2
	;; [unrolled: 1-line block ×6, first 2 shown]
	buffer_store_dword v0, off, s[56:59], 0 offset:412 ; 4-byte Folded Spill
	s_nop 0
	buffer_store_dword v1, off, s[56:59], 0 offset:416 ; 4-byte Folded Spill
	buffer_store_dword v2, off, s[56:59], 0 offset:404 ; 4-byte Folded Spill
	s_nop 0
	buffer_store_dword v3, off, s[56:59], 0 offset:408 ; 4-byte Folded Spill
	s_mov_b32 s19, 0x3fbedb7d
	s_mov_b32 s25, 0xbfe5384d
	v_mul_f64 v[10:11], v[192:193], s[24:25]
	s_mov_b32 s22, 0xd0032e0c
	s_mov_b32 s23, 0xbfe7f3cc
	v_mul_f64 v[12:13], v[237:238], s[22:23]
	v_add_f64 v[194:195], v[150:151], -v[130:131]
	s_mov_b32 s43, 0x3fe5384d
	s_mov_b32 s42, s24
	v_add_f64 v[212:213], v[150:151], v[130:131]
	v_add_f64 v[245:246], v[148:149], v[128:129]
	v_add_f64 v[243:244], v[148:149], -v[128:129]
	s_mov_b32 s28, 0x2ef20147
	s_mov_b32 s29, 0xbfedeba7
	v_mul_f64 v[66:67], v[194:195], s[20:21]
	v_mul_f64 v[14:15], v[194:195], s[28:29]
	s_mov_b32 s26, 0x66966769
	v_mul_f64 v[42:43], v[212:213], s[22:23]
	s_mov_b32 s30, 0xb2365da1
	s_mov_b32 s27, 0xbfefc445
	;; [unrolled: 1-line block ×3, first 2 shown]
	v_mul_f64 v[8:9], v[192:193], s[26:27]
	v_fma_f64 v[44:45], v[245:246], s[16:17], -v[66:67]
	v_mul_f64 v[18:19], v[212:213], s[30:31]
	s_mov_b32 s36, 0x4bc48dbf
	s_mov_b32 s37, 0xbfcea1e5
	v_mul_f64 v[16:17], v[194:195], s[36:37]
	s_mov_b32 s38, 0x93053d00
	s_mov_b32 s39, 0xbfef11f4
	v_fma_f64 v[28:29], v[221:222], s[18:19], -v[8:9]
	v_mul_f64 v[40:41], v[192:193], s[28:29]
	v_mul_f64 v[62:63], v[212:213], s[38:39]
	s_mov_b32 s41, 0x3fefc445
	s_mov_b32 s40, s26
	v_mul_f64 v[60:61], v[237:238], s[30:31]
	v_add_f64 v[204:205], v[146:147], -v[126:127]
	v_add_f64 v[206:207], v[144:145], v[124:125]
	v_add_f64 v[28:29], v[136:137], v[28:29]
	v_fma_f64 v[32:33], v[221:222], s[30:31], -v[40:41]
	v_add_f64 v[251:252], v[146:147], v[126:127]
	v_add_f64 v[208:209], v[144:145], -v[124:125]
	s_mov_b32 s47, 0x3fedeba7
	v_fma_f64 v[34:35], v[223:224], s[28:29], v[60:61]
	v_mul_f64 v[64:65], v[204:205], s[36:37]
	s_mov_b32 s46, s28
	s_mov_b32 s45, 0x3fddbe06
	v_add_f64 v[32:33], v[136:137], v[32:33]
	v_mul_f64 v[52:53], v[251:252], s[18:19]
	v_mul_f64 v[46:47], v[251:252], s[30:31]
	s_mov_b32 s44, s34
	v_add_f64 v[34:35], v[138:139], v[34:35]
	v_mul_f64 v[4:5], v[251:252], s[16:17]
	v_add_f64 v[233:234], v[154:155], v[122:123]
	v_add_f64 v[229:230], v[152:153], v[120:121]
	v_add_f64 v[231:232], v[152:153], -v[120:121]
	s_mov_b32 s48, s36
	v_add_f64 v[200:201], v[156:157], v[168:169]
	v_add_f64 v[202:203], v[156:157], -v[168:169]
	v_add_f64 v[239:240], v[160:161], -v[164:165]
	s_mov_b32 s53, 0x3fea55e2
	v_mul_f64 v[116:117], v[233:234], s[30:31]
	v_mul_f64 v[118:119], v[233:234], s[22:23]
	s_mov_b32 s52, s20
	v_fma_f64 v[20:21], v[221:222], s[14:15], -v[0:1]
	v_fma_f64 v[22:23], v[223:224], s[34:35], v[2:3]
	v_mul_f64 v[2:3], v[192:193], s[20:21]
	v_mul_f64 v[0:1], v[237:238], s[16:17]
	buffer_store_dword v2, off, s[56:59], 0 offset:468 ; 4-byte Folded Spill
	s_nop 0
	buffer_store_dword v3, off, s[56:59], 0 offset:472 ; 4-byte Folded Spill
	buffer_store_dword v0, off, s[56:59], 0 offset:444 ; 4-byte Folded Spill
	s_nop 0
	buffer_store_dword v1, off, s[56:59], 0 offset:448 ; 4-byte Folded Spill
	v_add_f64 v[20:21], v[136:137], v[20:21]
	v_add_f64 v[22:23], v[138:139], v[22:23]
	v_add_f64 v[20:21], v[44:45], v[20:21]
	v_fma_f64 v[24:25], v[221:222], s[16:17], -v[2:3]
	v_fma_f64 v[26:27], v[223:224], s[20:21], v[0:1]
	v_mul_f64 v[0:1], v[237:238], s[18:19]
	buffer_store_dword v0, off, s[56:59], 0 offset:420 ; 4-byte Folded Spill
	s_nop 0
	buffer_store_dword v1, off, s[56:59], 0 offset:424 ; 4-byte Folded Spill
	buffer_store_dword v10, off, s[56:59], 0 offset:244 ; 4-byte Folded Spill
	s_nop 0
	buffer_store_dword v11, off, s[56:59], 0 offset:248 ; 4-byte Folded Spill
	;; [unrolled: 3-line block ×3, first 2 shown]
	v_add_f64 v[24:25], v[136:137], v[24:25]
	v_add_f64 v[26:27], v[138:139], v[26:27]
	v_fma_f64 v[30:31], v[223:224], s[26:27], v[0:1]
	v_fma_f64 v[36:37], v[221:222], s[22:23], -v[10:11]
	v_mul_f64 v[10:11], v[194:195], s[42:43]
	buffer_store_dword v10, off, s[56:59], 0 offset:252 ; 4-byte Folded Spill
	s_nop 0
	buffer_store_dword v11, off, s[56:59], 0 offset:256 ; 4-byte Folded Spill
	buffer_store_dword v42, off, s[56:59], 0 offset:292 ; 4-byte Folded Spill
	s_nop 0
	buffer_store_dword v43, off, s[56:59], 0 offset:296 ; 4-byte Folded Spill
	v_fma_f64 v[38:39], v[223:224], s[24:25], v[12:13]
	v_mul_f64 v[12:13], v[212:213], s[16:17]
	v_add_f64 v[30:31], v[138:139], v[30:31]
	v_add_f64 v[36:37], v[136:137], v[36:37]
	v_mov_b32_e32 v0, v4
	v_mov_b32_e32 v1, v5
	v_add_f64 v[38:39], v[138:139], v[38:39]
	v_fma_f64 v[44:45], v[243:244], s[20:21], v[12:13]
	v_add_f64 v[22:23], v[44:45], v[22:23]
	v_fma_f64 v[44:45], v[245:246], s[30:31], -v[14:15]
	v_add_f64 v[24:25], v[44:45], v[24:25]
	v_fma_f64 v[44:45], v[243:244], s[28:29], v[18:19]
	v_add_f64 v[26:27], v[44:45], v[26:27]
	v_fma_f64 v[44:45], v[245:246], s[38:39], -v[16:17]
	;; [unrolled: 4-line block ×3, first 2 shown]
	v_mul_f64 v[10:11], v[194:195], s[40:41]
	buffer_store_dword v10, off, s[56:59], 0 offset:324 ; 4-byte Folded Spill
	s_nop 0
	buffer_store_dword v11, off, s[56:59], 0 offset:328 ; 4-byte Folded Spill
	v_add_f64 v[32:33], v[44:45], v[32:33]
	v_fma_f64 v[44:45], v[243:244], s[42:43], v[42:43]
	v_mul_f64 v[42:43], v[212:213], s[18:19]
	buffer_store_dword v42, off, s[56:59], 0 offset:372 ; 4-byte Folded Spill
	s_nop 0
	buffer_store_dword v43, off, s[56:59], 0 offset:376 ; 4-byte Folded Spill
	v_add_f64 v[34:35], v[44:45], v[34:35]
	v_fma_f64 v[44:45], v[245:246], s[18:19], -v[10:11]
	v_mul_f64 v[10:11], v[251:252], s[38:39]
	v_add_f64 v[36:37], v[44:45], v[36:37]
	v_fma_f64 v[44:45], v[243:244], s[40:41], v[42:43]
	v_mul_f64 v[42:43], v[204:205], s[26:27]
	v_add_f64 v[38:39], v[44:45], v[38:39]
	v_fma_f64 v[44:45], v[206:207], s[18:19], -v[42:43]
	v_add_f64 v[20:21], v[44:45], v[20:21]
	v_fma_f64 v[44:45], v[208:209], s[26:27], v[52:53]
	v_add_f64 v[44:45], v[44:45], v[22:23]
	v_fma_f64 v[22:23], v[206:207], s[38:39], -v[64:65]
	v_add_f64 v[24:25], v[22:23], v[24:25]
	v_fma_f64 v[22:23], v[208:209], s[36:37], v[10:11]
	v_add_f64 v[26:27], v[22:23], v[26:27]
	v_mul_f64 v[22:23], v[204:205], s[46:47]
	buffer_store_dword v22, off, s[56:59], 0 offset:228 ; 4-byte Folded Spill
	s_nop 0
	buffer_store_dword v23, off, s[56:59], 0 offset:232 ; 4-byte Folded Spill
	buffer_store_dword v46, off, s[56:59], 0 offset:236 ; 4-byte Folded Spill
	s_nop 0
	buffer_store_dword v47, off, s[56:59], 0 offset:240 ; 4-byte Folded Spill
	v_fma_f64 v[22:23], v[206:207], s[30:31], -v[22:23]
	v_add_f64 v[28:29], v[22:23], v[28:29]
	v_fma_f64 v[22:23], v[208:209], s[46:47], v[46:47]
	v_mul_f64 v[46:47], v[251:252], s[14:15]
	v_add_f64 v[30:31], v[22:23], v[30:31]
	v_mul_f64 v[22:23], v[204:205], s[44:45]
	buffer_store_dword v22, off, s[56:59], 0 offset:332 ; 4-byte Folded Spill
	s_nop 0
	buffer_store_dword v23, off, s[56:59], 0 offset:336 ; 4-byte Folded Spill
	buffer_store_dword v46, off, s[56:59], 0 offset:364 ; 4-byte Folded Spill
	s_nop 0
	buffer_store_dword v47, off, s[56:59], 0 offset:368 ; 4-byte Folded Spill
	v_fma_f64 v[22:23], v[206:207], s[14:15], -v[22:23]
	v_add_f64 v[32:33], v[22:23], v[32:33]
	v_fma_f64 v[22:23], v[208:209], s[44:45], v[46:47]
	v_add_f64 v[34:35], v[22:23], v[34:35]
	v_mul_f64 v[22:23], v[204:205], s[20:21]
	buffer_store_dword v22, off, s[56:59], 0 offset:452 ; 4-byte Folded Spill
	s_nop 0
	buffer_store_dword v23, off, s[56:59], 0 offset:456 ; 4-byte Folded Spill
	v_fma_f64 v[22:23], v[206:207], s[16:17], -v[22:23]
	v_add_f64 v[36:37], v[22:23], v[36:37]
	v_fma_f64 v[22:23], v[208:209], s[20:21], v[4:5]
	v_add_f64 v[38:39], v[22:23], v[38:39]
	v_add_f64 v[22:23], v[154:155], -v[122:123]
	v_mul_f64 v[46:47], v[22:23], s[28:29]
	buffer_store_dword v46, off, s[56:59], 0 offset:260 ; 4-byte Folded Spill
	s_nop 0
	buffer_store_dword v47, off, s[56:59], 0 offset:264 ; 4-byte Folded Spill
	buffer_store_dword v116, off, s[56:59], 0 offset:268 ; 4-byte Folded Spill
	s_nop 0
	buffer_store_dword v117, off, s[56:59], 0 offset:272 ; 4-byte Folded Spill
	v_fma_f64 v[46:47], v[229:230], s[30:31], -v[46:47]
	v_add_f64 v[46:47], v[46:47], v[20:21]
	v_fma_f64 v[20:21], v[231:232], s[28:29], v[116:117]
	v_add_f64 v[44:45], v[20:21], v[44:45]
	v_mul_f64 v[20:21], v[22:23], s[42:43]
	buffer_store_dword v20, off, s[56:59], 0 offset:276 ; 4-byte Folded Spill
	s_nop 0
	buffer_store_dword v21, off, s[56:59], 0 offset:280 ; 4-byte Folded Spill
	buffer_store_dword v118, off, s[56:59], 0 offset:300 ; 4-byte Folded Spill
	s_nop 0
	buffer_store_dword v119, off, s[56:59], 0 offset:304 ; 4-byte Folded Spill
	v_fma_f64 v[20:21], v[229:230], s[22:23], -v[20:21]
	v_add_f64 v[116:117], v[20:21], v[24:25]
	v_fma_f64 v[20:21], v[231:232], s[42:43], v[118:119]
	v_mul_f64 v[24:25], v[233:234], s[14:15]
	v_add_f64 v[26:27], v[20:21], v[26:27]
	v_mul_f64 v[20:21], v[22:23], s[44:45]
	buffer_store_dword v20, off, s[56:59], 0 offset:308 ; 4-byte Folded Spill
	s_nop 0
	buffer_store_dword v21, off, s[56:59], 0 offset:312 ; 4-byte Folded Spill
	buffer_store_dword v24, off, s[56:59], 0 offset:316 ; 4-byte Folded Spill
	s_nop 0
	buffer_store_dword v25, off, s[56:59], 0 offset:320 ; 4-byte Folded Spill
	v_fma_f64 v[20:21], v[229:230], s[14:15], -v[20:21]
	v_add_f64 v[28:29], v[20:21], v[28:29]
	v_fma_f64 v[20:21], v[231:232], s[44:45], v[24:25]
	v_mul_f64 v[24:25], v[233:234], s[18:19]
	v_add_f64 v[30:31], v[20:21], v[30:31]
	v_mul_f64 v[20:21], v[22:23], s[26:27]
	buffer_store_dword v20, off, s[56:59], 0 offset:476 ; 4-byte Folded Spill
	s_nop 0
	buffer_store_dword v21, off, s[56:59], 0 offset:480 ; 4-byte Folded Spill
	v_mov_b32_e32 v4, v24
	v_mov_b32_e32 v5, v25
	v_fma_f64 v[20:21], v[229:230], s[18:19], -v[20:21]
	v_add_f64 v[32:33], v[20:21], v[32:33]
	v_fma_f64 v[20:21], v[231:232], s[26:27], v[24:25]
	v_mul_f64 v[24:25], v[22:23], s[48:49]
	v_add_f64 v[118:119], v[20:21], v[34:35]
	v_mov_b32_e32 v2, v24
	v_mul_f64 v[20:21], v[233:234], s[38:39]
	v_mov_b32_e32 v3, v25
	v_fma_f64 v[24:25], v[229:230], s[38:39], -v[24:25]
	v_add_f64 v[34:35], v[158:159], -v[170:171]
	v_add_f64 v[36:37], v[24:25], v[36:37]
	v_fma_f64 v[24:25], v[231:232], s[48:49], v[20:21]
	v_mul_f64 v[172:173], v[34:35], s[24:25]
	buffer_store_dword v172, off, s[56:59], 0 offset:340 ; 4-byte Folded Spill
	s_nop 0
	buffer_store_dword v173, off, s[56:59], 0 offset:344 ; 4-byte Folded Spill
	v_add_f64 v[38:39], v[24:25], v[38:39]
	v_add_f64 v[24:25], v[158:159], v[170:171]
	v_mul_f64 v[174:175], v[24:25], s[22:23]
	buffer_store_dword v174, off, s[56:59], 0 offset:348 ; 4-byte Folded Spill
	s_nop 0
	buffer_store_dword v175, off, s[56:59], 0 offset:352 ; 4-byte Folded Spill
	v_mul_f64 v[241:242], v[24:25], s[38:39]
	v_fma_f64 v[172:173], v[200:201], s[22:23], -v[172:173]
	v_add_f64 v[172:173], v[172:173], v[46:47]
	v_fma_f64 v[46:47], v[202:203], s[24:25], v[174:175]
	v_mul_f64 v[174:175], v[24:25], s[18:19]
	v_add_f64 v[44:45], v[46:47], v[44:45]
	v_mul_f64 v[46:47], v[34:35], s[40:41]
	buffer_store_dword v46, off, s[56:59], 0 offset:356 ; 4-byte Folded Spill
	s_nop 0
	buffer_store_dword v47, off, s[56:59], 0 offset:360 ; 4-byte Folded Spill
	buffer_store_dword v174, off, s[56:59], 0 offset:380 ; 4-byte Folded Spill
	s_nop 0
	buffer_store_dword v175, off, s[56:59], 0 offset:384 ; 4-byte Folded Spill
	v_fma_f64 v[46:47], v[200:201], s[18:19], -v[46:47]
	v_add_f64 v[116:117], v[46:47], v[116:117]
	v_fma_f64 v[46:47], v[202:203], s[40:41], v[174:175]
	v_add_f64 v[178:179], v[46:47], v[26:27]
	v_mul_f64 v[26:27], v[34:35], s[20:21]
	v_mul_f64 v[46:47], v[24:25], s[16:17]
	buffer_store_dword v26, off, s[56:59], 0 offset:388 ; 4-byte Folded Spill
	s_nop 0
	buffer_store_dword v27, off, s[56:59], 0 offset:392 ; 4-byte Folded Spill
	buffer_store_dword v46, off, s[56:59], 0 offset:396 ; 4-byte Folded Spill
	s_nop 0
	buffer_store_dword v47, off, s[56:59], 0 offset:400 ; 4-byte Folded Spill
	v_fma_f64 v[26:27], v[200:201], s[16:17], -v[26:27]
	v_add_f64 v[28:29], v[26:27], v[28:29]
	v_fma_f64 v[26:27], v[202:203], s[20:21], v[46:47]
	v_add_f64 v[46:47], v[162:163], -v[166:167]
	v_add_f64 v[182:183], v[26:27], v[30:31]
	v_mul_f64 v[26:27], v[34:35], s[48:49]
	v_mul_f64 v[30:31], v[24:25], s[14:15]
	v_mov_b32_e32 v6, v26
	v_mov_b32_e32 v7, v27
	v_fma_f64 v[26:27], v[200:201], s[38:39], -v[26:27]
	v_add_f64 v[184:185], v[26:27], v[32:33]
	v_fma_f64 v[26:27], v[202:203], s[48:49], v[241:242]
	v_add_f64 v[186:187], v[26:27], v[118:119]
	v_mul_f64 v[26:27], v[34:35], s[44:45]
	v_add_f64 v[118:119], v[160:161], v[164:165]
	v_fma_f64 v[32:33], v[200:201], s[14:15], -v[26:27]
	v_add_f64 v[247:248], v[32:33], v[36:37]
	v_fma_f64 v[32:33], v[202:203], s[44:45], v[30:31]
	v_add_f64 v[36:37], v[162:163], v[166:167]
	v_add_f64 v[249:250], v[32:33], v[38:39]
	v_mul_f64 v[32:33], v[46:47], s[36:37]
	v_mul_f64 v[38:39], v[36:37], s[38:39]
	buffer_store_dword v32, off, s[56:59], 0 offset:428 ; 4-byte Folded Spill
	s_nop 0
	buffer_store_dword v33, off, s[56:59], 0 offset:432 ; 4-byte Folded Spill
	buffer_store_dword v38, off, s[56:59], 0 offset:436 ; 4-byte Folded Spill
	s_nop 0
	buffer_store_dword v39, off, s[56:59], 0 offset:440 ; 4-byte Folded Spill
	v_fma_f64 v[32:33], v[118:119], s[38:39], -v[32:33]
	v_add_f64 v[172:173], v[32:33], v[172:173]
	v_fma_f64 v[32:33], v[239:240], s[36:37], v[38:39]
	v_mul_f64 v[38:39], v[36:37], s[14:15]
	v_add_f64 v[174:175], v[32:33], v[44:45]
	v_mul_f64 v[32:33], v[46:47], s[44:45]
	buffer_store_dword v32, off, s[56:59], 0 offset:460 ; 4-byte Folded Spill
	s_nop 0
	buffer_store_dword v33, off, s[56:59], 0 offset:464 ; 4-byte Folded Spill
	buffer_store_dword v38, off, s[56:59], 0 offset:484 ; 4-byte Folded Spill
	s_nop 0
	buffer_store_dword v39, off, s[56:59], 0 offset:488 ; 4-byte Folded Spill
	v_mul_f64 v[44:45], v[36:37], s[30:31]
	s_waitcnt vmcnt(0)
	s_barrier
	v_fma_f64 v[32:33], v[118:119], s[14:15], -v[32:33]
	v_add_f64 v[176:177], v[32:33], v[116:117]
	v_fma_f64 v[32:33], v[239:240], s[44:45], v[38:39]
	v_mul_f64 v[116:117], v[46:47], s[24:25]
	v_mul_f64 v[38:39], v[36:37], s[22:23]
	v_add_f64 v[178:179], v[32:33], v[178:179]
	v_fma_f64 v[32:33], v[118:119], s[22:23], -v[116:117]
	v_mov_b32_e32 v55, v39
	v_mov_b32_e32 v54, v38
	v_add_f64 v[180:181], v[32:33], v[28:29]
	v_fma_f64 v[28:29], v[239:240], s[24:25], v[38:39]
	v_mul_f64 v[32:33], v[36:37], s[16:17]
	v_add_f64 v[182:183], v[28:29], v[182:183]
	v_mul_f64 v[28:29], v[46:47], s[52:53]
	v_fma_f64 v[38:39], v[118:119], s[16:17], -v[28:29]
	v_add_f64 v[188:189], v[38:39], v[184:185]
	v_fma_f64 v[38:39], v[239:240], s[52:53], v[32:33]
	v_add_f64 v[190:191], v[38:39], v[186:187]
	v_mul_f64 v[38:39], v[46:47], s[28:29]
	v_fma_f64 v[186:187], v[239:240], s[28:29], v[44:45]
	v_fma_f64 v[184:185], v[118:119], s[30:31], -v[38:39]
	v_add_f64 v[186:187], v[186:187], v[249:250]
	v_add_f64 v[184:185], v[184:185], v[247:248]
	s_and_saveexec_b64 s[50:51], s[0:1]
	s_cbranch_execz .LBB0_21
; %bb.20:
	v_mul_f64 v[247:248], v[223:224], s[36:37]
	buffer_store_dword v8, off, s[56:59], 0 offset:564 ; 4-byte Folded Spill
	s_nop 0
	buffer_store_dword v9, off, s[56:59], 0 offset:568 ; 4-byte Folded Spill
	buffer_store_dword v10, off, s[56:59], 0 offset:556 ; 4-byte Folded Spill
	s_nop 0
	buffer_store_dword v11, off, s[56:59], 0 offset:560 ; 4-byte Folded Spill
	v_mul_f64 v[249:250], v[243:244], s[44:45]
	v_mov_b32_e32 v10, v253
	v_mov_b32_e32 v11, v254
	buffer_store_dword v196, off, s[56:59], 0 offset:492 ; 4-byte Folded Spill
	buffer_store_dword v197, off, s[56:59], 0 offset:496 ; 4-byte Folded Spill
	v_mul_f64 v[196:197], v[192:193], s[36:37]
	buffer_store_dword v198, off, s[56:59], 0 offset:508 ; 4-byte Folded Spill
	buffer_store_dword v199, off, s[56:59], 0 offset:512 ; 4-byte Folded Spill
	v_fma_f64 v[253:254], v[237:238], s[38:39], v[247:248]
	v_mul_f64 v[198:199], v[194:195], s[44:45]
	v_fma_f64 v[192:193], v[212:213], s[14:15], v[249:250]
	buffer_store_dword v210, off, s[56:59], 0 offset:500 ; 4-byte Folded Spill
	buffer_store_dword v211, off, s[56:59], 0 offset:504 ; 4-byte Folded Spill
	v_mul_f64 v[204:205], v[204:205], s[24:25]
	buffer_store_dword v66, off, s[56:59], 0 offset:572 ; 4-byte Folded Spill
	s_nop 0
	buffer_store_dword v67, off, s[56:59], 0 offset:576 ; 4-byte Folded Spill
	buffer_store_dword v12, off, s[56:59], 0 offset:580 ; 4-byte Folded Spill
	s_nop 0
	buffer_store_dword v13, off, s[56:59], 0 offset:584 ; 4-byte Folded Spill
	;; [unrolled: 3-line block ×3, first 2 shown]
	buffer_store_dword v216, off, s[56:59], 0 offset:532 ; 4-byte Folded Spill
	buffer_store_dword v217, off, s[56:59], 0 offset:536 ; 4-byte Folded Spill
	v_fma_f64 v[194:195], v[221:222], s[38:39], -v[196:197]
	v_mul_f64 v[22:23], v[22:23], s[52:53]
	v_add_f64 v[253:254], v[138:139], v[253:254]
	v_mul_f64 v[34:35], v[34:35], s[28:29]
	buffer_store_dword v236, off, s[56:59], 0 offset:520 ; 4-byte Folded Spill
	v_mov_b32_e32 v236, v218
	buffer_store_dword v219, off, s[56:59], 0 offset:516 ; 4-byte Folded Spill
	v_mul_f64 v[218:219], v[239:240], s[40:41]
	v_add_f64 v[194:195], v[136:137], v[194:195]
	v_mul_f64 v[46:47], v[46:47], s[40:41]
	v_add_f64 v[192:193], v[192:193], v[253:254]
	v_fma_f64 v[253:254], v[245:246], s[14:15], -v[198:199]
	v_mul_f64 v[8:9], v[221:222], s[14:15]
	v_fma_f64 v[212:213], v[212:213], s[14:15], -v[249:250]
	v_fma_f64 v[196:197], v[221:222], s[38:39], v[196:197]
	v_fma_f64 v[198:199], v[245:246], s[14:15], v[198:199]
	v_mov_b32_e32 v67, v17
	v_mov_b32_e32 v66, v16
	;; [unrolled: 1-line block ×3, first 2 shown]
	v_add_f64 v[194:195], v[253:254], v[194:195]
	v_mul_f64 v[253:254], v[208:209], s[24:25]
	v_mov_b32_e32 v13, v117
	v_add_f64 v[196:197], v[136:137], v[196:197]
	v_mul_f64 v[116:117], v[229:230], s[14:15]
	v_mul_f64 v[249:250], v[223:224], s[26:27]
	v_fma_f64 v[210:211], v[251:252], s[22:23], v[253:254]
	v_add_f64 v[196:197], v[198:199], v[196:197]
	v_add_f64 v[192:193], v[210:211], v[192:193]
	v_fma_f64 v[210:211], v[206:207], s[22:23], -v[204:205]
	v_fma_f64 v[204:205], v[206:207], s[22:23], v[204:205]
	v_add_f64 v[194:195], v[210:211], v[194:195]
	v_mul_f64 v[210:211], v[231:232], s[52:53]
	v_add_f64 v[196:197], v[204:205], v[196:197]
	v_mul_f64 v[204:205], v[221:222], s[30:31]
	v_fma_f64 v[214:215], v[233:234], s[16:17], v[210:211]
	v_fma_f64 v[210:211], v[233:234], s[16:17], -v[210:211]
	v_mul_f64 v[233:234], v[223:224], s[20:21]
	v_add_f64 v[204:205], v[204:205], v[40:41]
	v_mul_f64 v[40:41], v[118:119], s[14:15]
	v_add_f64 v[192:193], v[214:215], v[192:193]
	v_fma_f64 v[214:215], v[229:230], s[16:17], -v[22:23]
	v_fma_f64 v[22:23], v[229:230], s[16:17], v[22:23]
	v_add_f64 v[194:195], v[214:215], v[194:195]
	v_mul_f64 v[214:215], v[202:203], s[28:29]
	v_add_f64 v[22:23], v[22:23], v[196:197]
	v_mov_b32_e32 v199, v59
	v_mov_b32_e32 v198, v58
	;; [unrolled: 1-line block ×6, first 2 shown]
	v_fma_f64 v[216:217], v[24:25], s[30:31], v[214:215]
	v_mov_b32_e32 v16, v225
	v_mov_b32_e32 v17, v226
	;; [unrolled: 1-line block ×4, first 2 shown]
	v_mul_f64 v[225:226], v[206:207], s[16:17]
	v_fma_f64 v[24:25], v[24:25], s[30:31], -v[214:215]
	v_mul_f64 v[214:215], v[206:207], s[38:39]
	v_add_f64 v[192:193], v[216:217], v[192:193]
	v_fma_f64 v[216:217], v[200:201], s[30:31], -v[34:35]
	v_fma_f64 v[34:35], v[200:201], s[30:31], v[34:35]
	v_mul_f64 v[227:228], v[206:207], s[30:31]
	v_mul_f64 v[56:57], v[239:240], s[24:25]
	v_add_f64 v[216:217], v[216:217], v[194:195]
	v_fma_f64 v[194:195], v[36:37], s[18:19], v[218:219]
	v_fma_f64 v[218:219], v[36:37], s[18:19], -v[218:219]
	v_mul_f64 v[36:37], v[229:230], s[22:23]
	v_add_f64 v[194:195], v[194:195], v[192:193]
	v_fma_f64 v[192:193], v[118:119], s[18:19], -v[46:47]
	v_add_f64 v[192:193], v[192:193], v[216:217]
	buffer_store_dword v192, off, s[56:59], 0 offset:540 ; 4-byte Folded Spill
	s_nop 0
	buffer_store_dword v193, off, s[56:59], 0 offset:544 ; 4-byte Folded Spill
	buffer_store_dword v194, off, s[56:59], 0 offset:548 ; 4-byte Folded Spill
	;; [unrolled: 1-line block ×4, first 2 shown]
	s_nop 0
	buffer_store_dword v9, off, s[56:59], 0 offset:592 ; 4-byte Folded Spill
	v_mul_f64 v[8:9], v[223:224], s[34:35]
	buffer_store_dword v8, off, s[56:59], 0 offset:604 ; 4-byte Folded Spill
	s_nop 0
	buffer_store_dword v9, off, s[56:59], 0 offset:608 ; 4-byte Folded Spill
	v_mul_f64 v[8:9], v[221:222], s[16:17]
	buffer_store_dword v8, off, s[56:59], 0 offset:596 ; 4-byte Folded Spill
	s_nop 0
	buffer_store_dword v9, off, s[56:59], 0 offset:600 ; 4-byte Folded Spill
	buffer_load_dword v8, off, s[56:59], 0 offset:284 ; 4-byte Folded Reload
	s_nop 0
	buffer_load_dword v9, off, s[56:59], 0 offset:288 ; 4-byte Folded Reload
	v_fma_f64 v[216:217], v[237:238], s[38:39], -v[247:248]
	v_fma_f64 v[237:238], v[251:252], s[22:23], -v[253:254]
	v_mul_f64 v[247:248], v[243:244], s[40:41]
	v_mul_f64 v[253:254], v[221:222], s[18:19]
	;; [unrolled: 1-line block ×5, first 2 shown]
	v_add_f64 v[216:217], v[138:139], v[216:217]
	v_add_f64 v[20:21], v[20:21], -v[251:252]
	v_add_f64 v[212:213], v[212:213], v[216:217]
	v_mul_f64 v[216:217], v[223:224], s[24:25]
	v_mul_f64 v[223:224], v[223:224], s[28:29]
	v_add_f64 v[212:213], v[237:238], v[212:213]
	v_mul_f64 v[237:238], v[243:244], s[28:29]
	v_add_f64 v[223:224], v[60:61], -v[223:224]
	v_mov_b32_e32 v61, v43
	v_mov_b32_e32 v60, v42
	v_add_f64 v[210:211], v[210:211], v[212:213]
	v_mul_f64 v[212:213], v[208:209], s[20:21]
	v_add_f64 v[223:224], v[138:139], v[223:224]
	v_add_f64 v[24:25], v[24:25], v[210:211]
	v_add_f64 v[212:213], v[0:1], -v[212:213]
	v_mul_f64 v[0:1], v[245:246], s[16:17]
	v_mul_f64 v[210:211], v[202:203], s[44:45]
	v_add_f64 v[30:31], v[30:31], -v[210:211]
	v_mul_f64 v[210:211], v[239:240], s[28:29]
	v_add_f64 v[44:45], v[44:45], -v[210:211]
	v_mul_f64 v[210:211], v[118:119], s[30:31]
	v_add_f64 v[251:252], v[210:211], v[38:39]
	v_mul_f64 v[38:39], v[200:201], s[14:15]
	v_mul_f64 v[210:211], v[229:230], s[30:31]
	v_add_f64 v[26:27], v[38:39], v[26:27]
	s_waitcnt vmcnt(0)
	v_add_f64 v[216:217], v[8:9], -v[216:217]
	buffer_load_dword v8, off, s[56:59], 0 offset:372 ; 4-byte Folded Reload
	buffer_load_dword v9, off, s[56:59], 0 offset:376 ; 4-byte Folded Reload
	s_nop 0
	buffer_store_dword v0, off, s[56:59], 0 offset:372 ; 4-byte Folded Spill
	s_nop 0
	buffer_store_dword v1, off, s[56:59], 0 offset:376 ; 4-byte Folded Spill
	v_mul_f64 v[0:1], v[243:244], s[20:21]
	buffer_store_dword v0, off, s[56:59], 0 offset:612 ; 4-byte Folded Spill
	s_nop 0
	buffer_store_dword v1, off, s[56:59], 0 offset:616 ; 4-byte Folded Spill
	v_mul_f64 v[0:1], v[245:246], s[30:31]
	buffer_store_dword v0, off, s[56:59], 0 offset:620 ; 4-byte Folded Spill
	s_nop 0
	buffer_store_dword v1, off, s[56:59], 0 offset:624 ; 4-byte Folded Spill
	v_add_f64 v[0:1], v[34:35], v[22:23]
	buffer_store_dword v0, off, s[56:59], 0 offset:284 ; 4-byte Folded Spill
	s_nop 0
	buffer_store_dword v1, off, s[56:59], 0 offset:288 ; 4-byte Folded Spill
	v_add_f64 v[216:217], v[138:139], v[216:217]
	v_mul_f64 v[38:39], v[231:232], s[26:27]
	v_mul_f64 v[34:35], v[208:209], s[36:37]
	s_waitcnt vmcnt(8)
	v_add_f64 v[247:248], v[8:9], -v[247:248]
	buffer_load_dword v8, off, s[56:59], 0 offset:244 ; 4-byte Folded Reload
	buffer_load_dword v9, off, s[56:59], 0 offset:248 ; 4-byte Folded Reload
	v_add_f64 v[216:217], v[247:248], v[216:217]
	v_mul_f64 v[247:248], v[206:207], s[18:19]
	v_mul_f64 v[206:207], v[206:207], s[14:15]
	v_add_f64 v[212:213], v[212:213], v[216:217]
	v_mul_f64 v[216:217], v[245:246], s[18:19]
	v_add_f64 v[20:21], v[20:21], v[212:213]
	v_mul_f64 v[212:213], v[243:244], s[36:37]
	v_mul_f64 v[243:244], v[243:244], s[42:43]
	v_add_f64 v[20:21], v[30:31], v[20:21]
	v_mul_f64 v[30:31], v[229:230], s[38:39]
	v_mul_f64 v[229:230], v[229:230], s[18:19]
	v_add_f64 v[30:31], v[30:31], v[2:3]
	s_waitcnt vmcnt(0)
	v_add_f64 v[22:23], v[221:222], v[8:9]
	buffer_load_dword v8, off, s[56:59], 0 offset:324 ; 4-byte Folded Reload
	buffer_load_dword v9, off, s[56:59], 0 offset:328 ; 4-byte Folded Reload
	;; [unrolled: 1-line block ×4, first 2 shown]
	v_mul_f64 v[221:222], v[245:246], s[38:39]
	v_mul_f64 v[245:246], v[245:246], s[22:23]
	v_add_f64 v[22:23], v[136:137], v[22:23]
	s_waitcnt vmcnt(2)
	v_add_f64 v[216:217], v[216:217], v[8:9]
	buffer_load_dword v8, off, s[56:59], 0 offset:292 ; 4-byte Folded Reload
	buffer_load_dword v9, off, s[56:59], 0 offset:296 ; 4-byte Folded Reload
	s_waitcnt vmcnt(2)
	v_add_f64 v[225:226], v[225:226], v[0:1]
	v_add_f64 v[22:23], v[216:217], v[22:23]
	v_mul_f64 v[216:217], v[208:209], s[26:27]
	v_add_f64 v[22:23], v[225:226], v[22:23]
	v_mul_f64 v[225:226], v[208:209], s[44:45]
	v_mul_f64 v[208:209], v[208:209], s[46:47]
	v_add_f64 v[22:23], v[30:31], v[22:23]
	v_add_f64 v[30:31], v[4:5], -v[38:39]
	v_mul_f64 v[38:39], v[231:232], s[42:43]
	v_mul_f64 v[4:5], v[118:119], s[22:23]
	v_add_f64 v[192:193], v[26:27], v[22:23]
	v_add_f64 v[26:27], v[136:137], v[204:205]
	v_mul_f64 v[204:205], v[202:203], s[24:25]
	v_add_f64 v[4:5], v[4:5], v[12:13]
	s_waitcnt vmcnt(0)
	v_add_f64 v[243:244], v[8:9], -v[243:244]
	buffer_load_dword v8, off, s[56:59], 0 offset:364 ; 4-byte Folded Reload
	buffer_load_dword v9, off, s[56:59], 0 offset:368 ; 4-byte Folded Reload
	v_add_f64 v[223:224], v[243:244], v[223:224]
	v_mul_f64 v[243:244], v[231:232], s[28:29]
	v_mul_f64 v[231:232], v[231:232], s[44:45]
	s_waitcnt vmcnt(0)
	v_add_f64 v[225:226], v[8:9], -v[225:226]
	buffer_load_dword v8, off, s[56:59], 0 offset:252 ; 4-byte Folded Reload
	buffer_load_dword v9, off, s[56:59], 0 offset:256 ; 4-byte Folded Reload
	v_add_f64 v[223:224], v[225:226], v[223:224]
	v_mul_f64 v[225:226], v[202:203], s[48:49]
	v_add_f64 v[30:31], v[30:31], v[223:224]
	v_mul_f64 v[223:224], v[200:201], s[18:19]
	v_add_f64 v[225:226], v[241:242], -v[225:226]
	v_mul_f64 v[241:242], v[239:240], s[52:53]
	v_add_f64 v[30:31], v[225:226], v[30:31]
	v_mul_f64 v[225:226], v[239:240], s[36:37]
	v_add_f64 v[32:33], v[32:33], -v[241:242]
	v_mul_f64 v[241:242], v[118:119], s[38:39]
	v_add_f64 v[30:31], v[32:33], v[30:31]
	s_waitcnt vmcnt(0)
	v_add_f64 v[22:23], v[245:246], v[8:9]
	buffer_load_dword v8, off, s[56:59], 0 offset:332 ; 4-byte Folded Reload
	buffer_load_dword v9, off, s[56:59], 0 offset:336 ; 4-byte Folded Reload
	;; [unrolled: 1-line block ×4, first 2 shown]
	v_mul_f64 v[245:246], v[202:203], s[40:41]
	v_mul_f64 v[202:203], v[202:203], s[20:21]
	v_add_f64 v[22:23], v[22:23], v[26:27]
	v_add_f64 v[26:27], v[44:45], v[20:21]
	s_waitcnt vmcnt(2)
	v_add_f64 v[206:207], v[206:207], v[8:9]
	s_waitcnt vmcnt(0)
	v_add_f64 v[229:230], v[229:230], v[0:1]
	buffer_load_dword v0, off, s[56:59], 0 offset:420 ; 4-byte Folded Reload
	buffer_load_dword v1, off, s[56:59], 0 offset:424 ; 4-byte Folded Reload
	v_mov_b32_e32 v8, v52
	v_mov_b32_e32 v9, v53
	;; [unrolled: 1-line block ×4, first 2 shown]
	v_mul_f64 v[14:15], v[200:201], s[16:17]
	v_mul_f64 v[200:201], v[200:201], s[38:39]
	v_add_f64 v[2:3], v[206:207], v[22:23]
	v_add_f64 v[22:23], v[218:219], v[24:25]
	buffer_load_dword v219, off, s[56:59], 0 offset:516 ; 4-byte Folded Reload
	v_mov_b32_e32 v218, v236
	buffer_load_dword v236, off, s[56:59], 0 offset:520 ; 4-byte Folded Reload
	v_mul_f64 v[206:207], v[239:240], s[44:45]
	v_fma_f64 v[239:240], v[118:119], s[18:19], v[46:47]
	v_add_f64 v[20:21], v[200:201], v[6:7]
	v_add_f64 v[2:3], v[229:230], v[2:3]
	v_mul_f64 v[46:47], v[118:119], s[16:17]
	v_add_f64 v[118:119], v[136:137], v[140:141]
	v_add_f64 v[24:25], v[62:63], -v[212:213]
	v_add_f64 v[2:3], v[20:21], v[2:3]
	v_add_f64 v[28:29], v[46:47], v[28:29]
	;; [unrolled: 1-line block ×7, first 2 shown]
	s_waitcnt vmcnt(2)
	v_add_f64 v[249:250], v[0:1], -v[249:250]
	buffer_load_dword v0, off, s[56:59], 0 offset:444 ; 4-byte Folded Reload
	buffer_load_dword v1, off, s[56:59], 0 offset:448 ; 4-byte Folded Reload
	;; [unrolled: 1-line block ×4, first 2 shown]
	v_add_f64 v[32:33], v[138:139], v[249:250]
	v_add_f64 v[24:25], v[24:25], v[32:33]
	v_add_f64 v[32:33], v[58:59], -v[237:238]
	s_waitcnt vmcnt(2)
	v_add_f64 v[44:45], v[0:1], -v[233:234]
	s_waitcnt vmcnt(0)
	v_add_f64 v[20:21], v[6:7], -v[208:209]
	buffer_load_dword v0, off, s[56:59], 0 offset:564 ; 4-byte Folded Reload
	buffer_load_dword v1, off, s[56:59], 0 offset:568 ; 4-byte Folded Reload
	buffer_load_dword v6, off, s[56:59], 0 offset:316 ; 4-byte Folded Reload
	buffer_load_dword v7, off, s[56:59], 0 offset:320 ; 4-byte Folded Reload
	v_add_f64 v[44:45], v[138:139], v[44:45]
	v_add_f64 v[20:21], v[20:21], v[24:25]
	v_add_f64 v[32:33], v[32:33], v[44:45]
	v_add_f64 v[44:45], v[118:119], v[144:145]
	s_waitcnt vmcnt(2)
	v_add_f64 v[140:141], v[253:254], v[0:1]
	s_waitcnt vmcnt(0)
	v_add_f64 v[142:143], v[6:7], -v[231:232]
	buffer_load_dword v0, off, s[56:59], 0 offset:556 ; 4-byte Folded Reload
	buffer_load_dword v1, off, s[56:59], 0 offset:560 ; 4-byte Folded Reload
	;; [unrolled: 1-line block ×4, first 2 shown]
	v_mov_b32_e32 v254, v11
	v_mov_b32_e32 v253, v10
	v_add_f64 v[140:141], v[136:137], v[140:141]
	v_add_f64 v[20:21], v[142:143], v[20:21]
	;; [unrolled: 1-line block ×3, first 2 shown]
	s_waitcnt vmcnt(2)
	v_add_f64 v[24:25], v[0:1], -v[34:35]
	v_add_f64 v[34:35], v[46:47], v[146:147]
	s_waitcnt vmcnt(0)
	v_add_f64 v[46:47], v[6:7], -v[202:203]
	buffer_load_dword v6, off, s[56:59], 0 offset:228 ; 4-byte Folded Reload
	buffer_load_dword v7, off, s[56:59], 0 offset:232 ; 4-byte Folded Reload
	v_add_f64 v[146:147], v[8:9], -v[216:217]
	v_add_f64 v[24:25], v[24:25], v[32:33]
	v_add_f64 v[32:33], v[34:35], v[154:155]
	;; [unrolled: 1-line block ×18, first 2 shown]
	s_waitcnt vmcnt(0)
	v_add_f64 v[118:119], v[227:228], v[6:7]
	buffer_load_dword v6, off, s[56:59], 0 offset:300 ; 4-byte Folded Reload
	buffer_load_dword v7, off, s[56:59], 0 offset:304 ; 4-byte Folded Reload
	;; [unrolled: 1-line block ×4, first 2 shown]
	s_waitcnt vmcnt(2)
	v_add_f64 v[38:39], v[6:7], -v[38:39]
	s_waitcnt vmcnt(0)
	v_add_f64 v[44:45], v[116:117], v[10:11]
	buffer_load_dword v10, off, s[56:59], 0 offset:380 ; 4-byte Folded Reload
	buffer_load_dword v11, off, s[56:59], 0 offset:384 ; 4-byte Folded Reload
	v_add_f64 v[116:117], v[118:119], v[140:141]
	v_add_f64 v[6:7], v[54:55], -v[56:57]
	v_mov_b32_e32 v56, v196
	v_mov_b32_e32 v57, v197
	;; [unrolled: 1-line block ×3, first 2 shown]
	v_add_f64 v[24:25], v[38:39], v[24:25]
	v_mov_b32_e32 v59, v199
	v_add_f64 v[44:45], v[44:45], v[116:117]
	v_add_f64 v[34:35], v[6:7], v[20:21]
	s_waitcnt vmcnt(0)
	v_add_f64 v[46:47], v[10:11], -v[245:246]
	buffer_load_dword v10, off, s[56:59], 0 offset:388 ; 4-byte Folded Reload
	buffer_load_dword v11, off, s[56:59], 0 offset:392 ; 4-byte Folded Reload
	;; [unrolled: 1-line block ×4, first 2 shown]
	v_add_f64 v[24:25], v[46:47], v[24:25]
	s_waitcnt vmcnt(2)
	v_add_f64 v[38:39], v[14:15], v[10:11]
	s_waitcnt vmcnt(0)
	v_add_f64 v[116:117], v[0:1], -v[206:207]
	buffer_load_dword v10, off, s[56:59], 0 offset:404 ; 4-byte Folded Reload
	buffer_load_dword v11, off, s[56:59], 0 offset:408 ; 4-byte Folded Reload
	buffer_load_dword v0, off, s[56:59], 0 offset:604 ; 4-byte Folded Reload
	buffer_load_dword v1, off, s[56:59], 0 offset:608 ; 4-byte Folded Reload
	s_waitcnt vmcnt(0)
	v_add_f64 v[118:119], v[10:11], -v[0:1]
	buffer_load_dword v0, off, s[56:59], 0 offset:412 ; 4-byte Folded Reload
	buffer_load_dword v1, off, s[56:59], 0 offset:416 ; 4-byte Folded Reload
	;; [unrolled: 1-line block ×4, first 2 shown]
	v_add_f64 v[118:119], v[138:139], v[118:119]
	s_waitcnt vmcnt(0)
	v_add_f64 v[46:47], v[10:11], v[0:1]
	buffer_load_dword v0, off, s[56:59], 0 offset:468 ; 4-byte Folded Reload
	buffer_load_dword v1, off, s[56:59], 0 offset:472 ; 4-byte Folded Reload
	;; [unrolled: 1-line block ×4, first 2 shown]
	v_add_f64 v[46:47], v[136:137], v[46:47]
	s_waitcnt vmcnt(0)
	v_add_f64 v[140:141], v[10:11], v[0:1]
	buffer_load_dword v0, off, s[56:59], 0 offset:620 ; 4-byte Folded Reload
	buffer_load_dword v1, off, s[56:59], 0 offset:624 ; 4-byte Folded Reload
	v_add_f64 v[136:137], v[136:137], v[140:141]
	v_add_f64 v[140:141], v[214:215], v[64:65]
	s_waitcnt vmcnt(0)
	v_add_f64 v[142:143], v[0:1], v[52:53]
	buffer_load_dword v0, off, s[56:59], 0 offset:580 ; 4-byte Folded Reload
	buffer_load_dword v1, off, s[56:59], 0 offset:584 ; 4-byte Folded Reload
	;; [unrolled: 1-line block ×4, first 2 shown]
	v_add_f64 v[136:137], v[142:143], v[136:137]
	v_add_f64 v[120:121], v[140:141], v[136:137]
	s_waitcnt vmcnt(0)
	v_add_f64 v[144:145], v[0:1], -v[10:11]
	buffer_load_dword v0, off, s[56:59], 0 offset:572 ; 4-byte Folded Reload
	buffer_load_dword v1, off, s[56:59], 0 offset:576 ; 4-byte Folded Reload
	;; [unrolled: 1-line block ×10, first 2 shown]
	v_add_f64 v[118:119], v[144:145], v[118:119]
	v_add_f64 v[144:145], v[247:248], v[60:61]
	v_add_f64 v[118:119], v[146:147], v[118:119]
	s_waitcnt vmcnt(6)
	v_add_f64 v[138:139], v[10:11], v[0:1]
	buffer_load_dword v0, off, s[56:59], 0 offset:276 ; 4-byte Folded Reload
	buffer_load_dword v1, off, s[56:59], 0 offset:280 ; 4-byte Folded Reload
	v_add_f64 v[46:47], v[138:139], v[46:47]
	v_add_f64 v[46:47], v[144:145], v[46:47]
	s_waitcnt vmcnt(0)
	v_add_f64 v[36:37], v[36:37], v[0:1]
	buffer_load_dword v0, off, s[56:59], 0 offset:268 ; 4-byte Folded Reload
	buffer_load_dword v1, off, s[56:59], 0 offset:272 ; 4-byte Folded Reload
	v_add_f64 v[36:37], v[36:37], v[120:121]
	s_waitcnt vmcnt(0)
	v_add_f64 v[138:139], v[0:1], -v[243:244]
	buffer_load_dword v0, off, s[56:59], 0 offset:260 ; 4-byte Folded Reload
	buffer_load_dword v1, off, s[56:59], 0 offset:264 ; 4-byte Folded Reload
	;; [unrolled: 1-line block ×4, first 2 shown]
	v_add_f64 v[118:119], v[138:139], v[118:119]
	s_waitcnt vmcnt(2)
	v_add_f64 v[142:143], v[210:211], v[0:1]
	buffer_load_dword v0, off, s[56:59], 0 offset:356 ; 4-byte Folded Reload
	buffer_load_dword v1, off, s[56:59], 0 offset:360 ; 4-byte Folded Reload
	v_add_f64 v[46:47], v[142:143], v[46:47]
	s_waitcnt vmcnt(0)
	v_add_f64 v[122:123], v[223:224], v[0:1]
	buffer_load_dword v0, off, s[56:59], 0 offset:348 ; 4-byte Folded Reload
	buffer_load_dword v1, off, s[56:59], 0 offset:352 ; 4-byte Folded Reload
	v_add_f64 v[36:37], v[122:123], v[36:37]
	v_add_f64 v[122:123], v[38:39], v[44:45]
	;; [unrolled: 1-line block ×5, first 2 shown]
	s_waitcnt vmcnt(0)
	v_add_f64 v[136:137], v[0:1], -v[204:205]
	buffer_load_dword v0, off, s[56:59], 0 offset:340 ; 4-byte Folded Reload
	buffer_load_dword v1, off, s[56:59], 0 offset:344 ; 4-byte Folded Reload
	v_add_f64 v[118:119], v[136:137], v[118:119]
	s_waitcnt vmcnt(0)
	v_add_f64 v[138:139], v[194:195], v[0:1]
	buffer_load_dword v0, off, s[56:59], 0 offset:460 ; 4-byte Folded Reload
	buffer_load_dword v1, off, s[56:59], 0 offset:464 ; 4-byte Folded Reload
	;; [unrolled: 1-line block ×4, first 2 shown]
	v_add_f64 v[128:129], v[138:139], v[46:47]
	s_waitcnt vmcnt(2)
	v_add_f64 v[0:1], v[40:41], v[0:1]
	s_waitcnt vmcnt(0)
	v_add_f64 v[120:121], v[8:9], -v[225:226]
	buffer_load_dword v8, off, s[56:59], 0 offset:428 ; 4-byte Folded Reload
	buffer_load_dword v9, off, s[56:59], 0 offset:432 ; 4-byte Folded Reload
	v_mov_b32_e32 v228, v19
	v_mov_b32_e32 v227, v18
	;; [unrolled: 1-line block ×4, first 2 shown]
	v_add_f64 v[36:37], v[0:1], v[36:37]
	buffer_load_dword v211, off, s[56:59], 0 offset:504 ; 4-byte Folded Reload
	buffer_load_dword v210, off, s[56:59], 0 offset:500 ; 4-byte Folded Reload
	;; [unrolled: 1-line block ×4, first 2 shown]
	v_add_f64 v[46:47], v[120:121], v[118:119]
	v_add_f64 v[118:119], v[32:33], v[134:135]
	;; [unrolled: 1-line block ×3, first 2 shown]
	s_waitcnt vmcnt(4)
	v_add_f64 v[124:125], v[241:242], v[8:9]
	s_waitcnt vmcnt(0)
	v_add_f64 v[20:21], v[239:240], v[0:1]
	buffer_load_dword v0, off, s[56:59], 0 offset:16 ; 4-byte Folded Reload
	v_add_f64 v[44:45], v[124:125], v[128:129]
	s_waitcnt vmcnt(0)
	v_lshlrev_b32_e32 v0, 4, v0
	ds_write_b128 v0, v[116:119]
	ds_write_b128 v0, v[44:47] offset:16
	ds_write_b128 v0, v[36:39] offset:32
	;; [unrolled: 1-line block ×6, first 2 shown]
	buffer_load_dword v1, off, s[56:59], 0 offset:540 ; 4-byte Folded Reload
	buffer_load_dword v2, off, s[56:59], 0 offset:544 ; 4-byte Folded Reload
	buffer_load_dword v3, off, s[56:59], 0 offset:548 ; 4-byte Folded Reload
	buffer_load_dword v4, off, s[56:59], 0 offset:552 ; 4-byte Folded Reload
	s_waitcnt vmcnt(0)
	ds_write_b128 v0, v[1:4] offset:112
	ds_write_b128 v0, v[184:187] offset:128
	;; [unrolled: 1-line block ×6, first 2 shown]
.LBB0_21:
	s_or_b64 exec, exec, s[50:51]
	s_waitcnt lgkmcnt(0)
	s_barrier
	ds_read_b128 v[124:127], v255
	ds_read_b128 v[128:131], v255 offset:2912
	ds_read_b128 v[148:151], v255 offset:13104
	;; [unrolled: 1-line block ×7, first 2 shown]
	s_and_saveexec_b64 s[14:15], s[2:3]
	s_cbranch_execz .LBB0_23
; %bb.22:
	ds_read_b128 v[184:187], v255 offset:11648
	ds_read_b128 v[188:191], v255 offset:24752
.LBB0_23:
	s_or_b64 exec, exec, s[14:15]
	buffer_load_dword v12, off, s[56:59], 0 offset:36 ; 4-byte Folded Reload
	buffer_load_dword v13, off, s[56:59], 0 offset:40 ; 4-byte Folded Reload
	;; [unrolled: 1-line block ×12, first 2 shown]
	s_waitcnt lgkmcnt(5)
	v_mul_f64 v[0:1], v[227:228], v[150:151]
	v_mul_f64 v[2:3], v[227:228], v[148:149]
	s_waitcnt lgkmcnt(4)
	v_mul_f64 v[4:5], v[216:217], v[138:139]
	v_mul_f64 v[6:7], v[216:217], v[136:137]
	s_waitcnt vmcnt(0) lgkmcnt(0)
	s_barrier
	v_fma_f64 v[0:1], v[225:226], v[148:149], v[0:1]
	v_fma_f64 v[2:3], v[225:226], v[150:151], -v[2:3]
	v_fma_f64 v[26:27], v[214:215], v[136:137], v[4:5]
	v_fma_f64 v[28:29], v[214:215], v[138:139], -v[6:7]
	v_add_f64 v[4:5], v[124:125], -v[0:1]
	v_add_f64 v[6:7], v[126:127], -v[2:3]
	v_mul_f64 v[20:21], v[14:15], v[146:147]
	v_mul_f64 v[14:15], v[14:15], v[144:145]
	;; [unrolled: 1-line block ×6, first 2 shown]
	v_fma_f64 v[20:21], v[12:13], v[144:145], v[20:21]
	v_fma_f64 v[14:15], v[12:13], v[146:147], -v[14:15]
	v_fma_f64 v[22:23], v[16:17], v[140:141], v[22:23]
	v_fma_f64 v[18:19], v[16:17], v[142:143], -v[18:19]
	;; [unrolled: 2-line block ×3, first 2 shown]
	v_add_f64 v[8:9], v[128:129], -v[26:27]
	v_add_f64 v[10:11], v[130:131], -v[28:29]
	;; [unrolled: 1-line block ×6, first 2 shown]
	v_fma_f64 v[20:21], v[124:125], 2.0, -v[4:5]
	v_fma_f64 v[22:23], v[126:127], 2.0, -v[6:7]
	v_add_f64 v[0:1], v[184:185], -v[36:37]
	v_add_f64 v[2:3], v[186:187], -v[38:39]
	v_fma_f64 v[24:25], v[128:129], 2.0, -v[8:9]
	v_fma_f64 v[26:27], v[130:131], 2.0, -v[10:11]
	;; [unrolled: 1-line block ×6, first 2 shown]
	ds_write_b128 v198, v[20:23]
	ds_write_b128 v198, v[4:7] offset:208
	ds_write_b128 v211, v[24:27]
	ds_write_b128 v211, v[8:11] offset:208
	;; [unrolled: 2-line block ×4, first 2 shown]
	s_and_saveexec_b64 s[14:15], s[2:3]
	s_cbranch_execz .LBB0_25
; %bb.24:
	v_fma_f64 v[6:7], v[186:187], 2.0, -v[2:3]
	v_fma_f64 v[4:5], v[184:185], 2.0, -v[0:1]
	v_mad_legacy_u16 v8, v196, 26, v197
	v_lshlrev_b32_e32 v8, 4, v8
	ds_write_b128 v8, v[4:7]
	ds_write_b128 v8, v[0:3] offset:208
.LBB0_25:
	s_or_b64 exec, exec, s[14:15]
	s_waitcnt lgkmcnt(0)
	s_barrier
	ds_read_b128 v[4:7], v255 offset:8736
	ds_read_b128 v[8:11], v255
	ds_read_b128 v[12:15], v255 offset:2912
	ds_read_b128 v[16:19], v255 offset:17472
	;; [unrolled: 1-line block ×4, first 2 shown]
	buffer_load_dword v40, off, s[56:59], 0 offset:116 ; 4-byte Folded Reload
	buffer_load_dword v41, off, s[56:59], 0 offset:120 ; 4-byte Folded Reload
	;; [unrolled: 1-line block ×4, first 2 shown]
	ds_read_b128 v[28:31], v255 offset:11648
	ds_read_b128 v[32:35], v255 offset:14560
	s_waitcnt lgkmcnt(4)
	v_mul_f64 v[66:67], v[58:59], v[18:19]
	v_mul_f64 v[62:63], v[58:59], v[16:17]
	ds_read_b128 v[36:39], v255 offset:23296
	s_waitcnt lgkmcnt(2)
	v_mul_f64 v[116:117], v[50:51], v[30:31]
	v_mul_f64 v[54:55], v[50:51], v[28:29]
	s_mov_b32 s2, 0xe8584caa
	s_mov_b32 s3, 0xbfebb67a
	;; [unrolled: 1-line block ×4, first 2 shown]
	v_fma_f64 v[18:19], v[56:57], v[18:19], -v[62:63]
	v_fma_f64 v[52:53], v[48:49], v[30:31], -v[54:55]
	s_waitcnt vmcnt(0)
	v_mul_f64 v[44:45], v[42:43], v[6:7]
	v_mul_f64 v[46:47], v[42:43], v[4:5]
	v_fma_f64 v[4:5], v[40:41], v[4:5], v[44:45]
	v_fma_f64 v[6:7], v[40:41], v[6:7], -v[46:47]
	buffer_load_dword v40, off, s[56:59], 0 offset:68 ; 4-byte Folded Reload
	buffer_load_dword v41, off, s[56:59], 0 offset:72 ; 4-byte Folded Reload
	;; [unrolled: 1-line block ×4, first 2 shown]
	v_fma_f64 v[44:45], v[56:57], v[16:17], v[66:67]
	buffer_load_dword v56, off, s[56:59], 0 offset:100 ; 4-byte Folded Reload
	buffer_load_dword v57, off, s[56:59], 0 offset:104 ; 4-byte Folded Reload
	;; [unrolled: 1-line block ×4, first 2 shown]
	v_fma_f64 v[46:47], v[48:49], v[28:29], v[116:117]
	buffer_load_dword v48, off, s[56:59], 0 offset:84 ; 4-byte Folded Reload
	buffer_load_dword v49, off, s[56:59], 0 offset:88 ; 4-byte Folded Reload
	;; [unrolled: 1-line block ×4, first 2 shown]
	s_waitcnt vmcnt(0) lgkmcnt(0)
	s_barrier
	v_add_f64 v[54:55], v[4:5], v[44:45]
	v_mul_f64 v[16:17], v[42:43], v[22:23]
	v_mul_f64 v[42:43], v[42:43], v[20:21]
	;; [unrolled: 1-line block ×4, first 2 shown]
	v_fma_f64 v[58:59], v[40:41], v[20:21], v[16:17]
	v_mul_f64 v[16:17], v[50:51], v[38:39]
	v_fma_f64 v[40:41], v[40:41], v[22:23], -v[42:43]
	v_add_f64 v[22:23], v[8:9], v[4:5]
	v_mul_f64 v[20:21], v[50:51], v[36:37]
	v_fma_f64 v[34:35], v[56:57], v[34:35], -v[30:31]
	v_add_f64 v[30:31], v[6:7], v[18:19]
	v_fma_f64 v[42:43], v[56:57], v[32:33], v[28:29]
	v_add_f64 v[28:29], v[6:7], -v[18:19]
	v_fma_f64 v[50:51], v[48:49], v[36:37], v[16:17]
	v_add_f64 v[6:7], v[10:11], v[6:7]
	v_add_f64 v[16:17], v[22:23], v[44:45]
	;; [unrolled: 1-line block ×3, first 2 shown]
	v_fma_f64 v[8:9], v[54:55], -0.5, v[8:9]
	v_fma_f64 v[48:49], v[48:49], v[38:39], -v[20:21]
	v_fma_f64 v[10:11], v[30:31], -0.5, v[10:11]
	v_add_f64 v[4:5], v[4:5], -v[44:45]
	v_add_f64 v[32:33], v[12:13], v[46:47]
	v_add_f64 v[38:39], v[52:53], -v[40:41]
	v_add_f64 v[18:19], v[6:7], v[18:19]
	v_fma_f64 v[36:37], v[22:23], -0.5, v[12:13]
	v_add_f64 v[6:7], v[52:53], v[40:41]
	v_fma_f64 v[20:21], v[28:29], s[2:3], v[8:9]
	v_fma_f64 v[28:29], v[28:29], s[14:15], v[8:9]
	;; [unrolled: 1-line block ×4, first 2 shown]
	v_add_f64 v[4:5], v[42:43], v[50:51]
	v_add_f64 v[8:9], v[34:35], v[48:49]
	;; [unrolled: 1-line block ×4, first 2 shown]
	v_fma_f64 v[32:33], v[38:39], s[2:3], v[36:37]
	v_fma_f64 v[36:37], v[38:39], s[14:15], v[36:37]
	v_fma_f64 v[6:7], v[6:7], -0.5, v[14:15]
	v_add_f64 v[38:39], v[46:47], -v[58:59]
	v_add_f64 v[44:45], v[24:25], v[42:43]
	v_add_f64 v[54:55], v[26:27], v[34:35]
	v_fma_f64 v[46:47], v[4:5], -0.5, v[24:25]
	v_add_f64 v[52:53], v[34:35], -v[48:49]
	v_fma_f64 v[56:57], v[8:9], -0.5, v[26:27]
	v_add_f64 v[42:43], v[42:43], -v[50:51]
	v_add_f64 v[14:15], v[10:11], v[40:41]
	v_fma_f64 v[34:35], v[38:39], s[14:15], v[6:7]
	v_fma_f64 v[38:39], v[38:39], s[2:3], v[6:7]
	v_add_f64 v[24:25], v[44:45], v[50:51]
	v_add_f64 v[26:27], v[54:55], v[48:49]
	v_fma_f64 v[4:5], v[52:53], s[2:3], v[46:47]
	v_fma_f64 v[8:9], v[52:53], s[14:15], v[46:47]
	;; [unrolled: 1-line block ×4, first 2 shown]
	ds_write_b128 v235, v[16:19]
	ds_write_b128 v235, v[20:23] offset:416
	ds_write_b128 v235, v[28:31] offset:832
	ds_write_b128 v219, v[12:15]
	ds_write_b128 v219, v[32:35] offset:416
	ds_write_b128 v219, v[36:39] offset:832
	;; [unrolled: 3-line block ×3, first 2 shown]
	s_waitcnt lgkmcnt(0)
	s_barrier
	ds_read_b128 v[12:15], v255
	ds_read_b128 v[60:63], v255 offset:3744
	ds_read_b128 v[56:59], v255 offset:7488
	ds_read_b128 v[40:43], v255 offset:11232
	ds_read_b128 v[16:19], v255 offset:14976
	ds_read_b128 v[48:51], v255 offset:18720
	ds_read_b128 v[52:55], v255 offset:22464
	s_and_saveexec_b64 s[2:3], s[4:5]
	s_cbranch_execz .LBB0_27
; %bb.26:
	ds_read_b128 v[4:7], v255 offset:2912
	ds_read_b128 v[8:11], v255 offset:6656
	;; [unrolled: 1-line block ×7, first 2 shown]
	s_waitcnt lgkmcnt(0)
	buffer_store_dword v20, off, s[56:59], 0 ; 4-byte Folded Spill
	s_nop 0
	buffer_store_dword v21, off, s[56:59], 0 offset:4 ; 4-byte Folded Spill
	buffer_store_dword v22, off, s[56:59], 0 offset:8 ; 4-byte Folded Spill
	;; [unrolled: 1-line block ×3, first 2 shown]
.LBB0_27:
	s_or_b64 exec, exec, s[2:3]
	s_waitcnt lgkmcnt(5)
	v_mul_f64 v[20:21], v[90:91], v[62:63]
	v_mul_f64 v[22:23], v[90:91], v[60:61]
	s_waitcnt lgkmcnt(4)
	v_mul_f64 v[24:25], v[86:87], v[58:59]
	v_mul_f64 v[26:27], v[86:87], v[56:57]
	;; [unrolled: 3-line block ×3, first 2 shown]
	v_mul_f64 v[36:37], v[78:79], v[50:51]
	v_mul_f64 v[38:39], v[78:79], v[48:49]
	v_fma_f64 v[20:21], v[88:89], v[60:61], v[20:21]
	v_fma_f64 v[22:23], v[88:89], v[62:63], -v[22:23]
	v_fma_f64 v[24:25], v[84:85], v[56:57], v[24:25]
	v_fma_f64 v[26:27], v[84:85], v[58:59], -v[26:27]
	v_mul_f64 v[32:33], v[74:75], v[42:43]
	v_mul_f64 v[34:35], v[74:75], v[40:41]
	v_mul_f64 v[44:45], v[70:71], v[18:19]
	v_mul_f64 v[46:47], v[70:71], v[16:17]
	v_fma_f64 v[28:29], v[80:81], v[52:53], v[28:29]
	v_fma_f64 v[30:31], v[80:81], v[54:55], -v[30:31]
	v_fma_f64 v[36:37], v[76:77], v[48:49], v[36:37]
	v_fma_f64 v[38:39], v[76:77], v[50:51], -v[38:39]
	;; [unrolled: 2-line block ×4, first 2 shown]
	v_add_f64 v[40:41], v[20:21], v[28:29]
	v_add_f64 v[42:43], v[22:23], v[30:31]
	v_add_f64 v[20:21], v[20:21], -v[28:29]
	v_add_f64 v[22:23], v[22:23], -v[30:31]
	v_add_f64 v[28:29], v[24:25], v[36:37]
	v_add_f64 v[30:31], v[26:27], v[38:39]
	v_add_f64 v[24:25], v[24:25], -v[36:37]
	v_add_f64 v[26:27], v[26:27], -v[38:39]
	;; [unrolled: 4-line block ×4, first 2 shown]
	v_add_f64 v[40:41], v[40:41], -v[36:37]
	v_add_f64 v[42:43], v[42:43], -v[38:39]
	;; [unrolled: 1-line block ×4, first 2 shown]
	v_add_f64 v[48:49], v[16:17], v[24:25]
	v_add_f64 v[50:51], v[18:19], v[26:27]
	v_add_f64 v[52:53], v[16:17], -v[24:25]
	v_add_f64 v[54:55], v[18:19], -v[26:27]
	v_add_f64 v[32:33], v[36:37], v[32:33]
	v_add_f64 v[34:35], v[38:39], v[34:35]
	v_add_f64 v[24:25], v[24:25], -v[20:21]
	v_add_f64 v[26:27], v[26:27], -v[22:23]
	s_mov_b32 s18, 0x37e14327
	s_mov_b32 s14, 0x36b3c0b5
	;; [unrolled: 1-line block ×7, first 2 shown]
	v_add_f64 v[16:17], v[20:21], -v[16:17]
	v_add_f64 v[18:19], v[22:23], -v[18:19]
	v_add_f64 v[20:21], v[48:49], v[20:21]
	v_add_f64 v[22:23], v[50:51], v[22:23]
	;; [unrolled: 1-line block ×4, first 2 shown]
	v_mul_f64 v[36:37], v[40:41], s[18:19]
	v_mul_f64 v[38:39], v[42:43], s[18:19]
	;; [unrolled: 1-line block ×6, first 2 shown]
	s_mov_b32 s3, 0xbfebfeb5
	v_mul_f64 v[52:53], v[24:25], s[2:3]
	v_mul_f64 v[54:55], v[26:27], s[2:3]
	s_mov_b32 s28, 0xaaaaaaaa
	s_mov_b32 s16, 0x5476071b
	;; [unrolled: 1-line block ×8, first 2 shown]
	v_fma_f64 v[32:33], v[32:33], s[28:29], v[12:13]
	v_fma_f64 v[34:35], v[34:35], s[28:29], v[14:15]
	;; [unrolled: 1-line block ×4, first 2 shown]
	v_fma_f64 v[40:41], v[44:45], s[16:17], -v[40:41]
	v_fma_f64 v[42:43], v[46:47], s[16:17], -v[42:43]
	;; [unrolled: 1-line block ×4, first 2 shown]
	v_fma_f64 v[44:45], v[16:17], s[30:31], v[48:49]
	v_fma_f64 v[46:47], v[18:19], s[30:31], v[50:51]
	s_mov_b32 s27, 0x3fd5d0dc
	s_mov_b32 s26, s30
	v_fma_f64 v[16:17], v[16:17], s[26:27], -v[52:53]
	v_fma_f64 v[18:19], v[18:19], s[26:27], -v[54:55]
	v_fma_f64 v[24:25], v[24:25], s[2:3], -v[48:49]
	v_fma_f64 v[26:27], v[26:27], s[2:3], -v[50:51]
	s_mov_b32 s24, 0x37c3f68c
	s_mov_b32 s25, 0xbfdc38aa
	v_add_f64 v[48:49], v[28:29], v[32:33]
	v_add_f64 v[50:51], v[30:31], v[34:35]
	;; [unrolled: 1-line block ×6, first 2 shown]
	v_fma_f64 v[36:37], v[22:23], s[24:25], v[46:47]
	v_fma_f64 v[38:39], v[20:21], s[24:25], v[44:45]
	;; [unrolled: 1-line block ×6, first 2 shown]
	s_waitcnt vmcnt(0)
	s_barrier
	v_add_f64 v[16:17], v[36:37], v[48:49]
	v_add_f64 v[18:19], v[50:51], -v[38:39]
	v_add_f64 v[20:21], v[40:41], v[32:33]
	v_add_f64 v[22:23], v[34:35], -v[42:43]
	v_add_f64 v[24:25], v[28:29], -v[44:45]
	v_add_f64 v[26:27], v[46:47], v[30:31]
	v_add_f64 v[28:29], v[44:45], v[28:29]
	v_add_f64 v[30:31], v[30:31], -v[46:47]
	v_add_f64 v[32:33], v[32:33], -v[40:41]
	v_add_f64 v[34:35], v[42:43], v[34:35]
	v_add_f64 v[36:37], v[48:49], -v[36:37]
	v_add_f64 v[38:39], v[38:39], v[50:51]
	ds_write_b128 v220, v[12:15]
	ds_write_b128 v220, v[16:19] offset:1248
	ds_write_b128 v220, v[20:23] offset:2496
	;; [unrolled: 1-line block ×6, first 2 shown]
	s_and_saveexec_b64 s[34:35], s[4:5]
	s_cbranch_execz .LBB0_29
; %bb.28:
	buffer_load_dword v38, off, s[56:59], 0 offset:148 ; 4-byte Folded Reload
	buffer_load_dword v39, off, s[56:59], 0 offset:152 ; 4-byte Folded Reload
	;; [unrolled: 1-line block ×16, first 2 shown]
	buffer_load_dword v56, off, s[56:59], 0 ; 4-byte Folded Reload
	buffer_load_dword v57, off, s[56:59], 0 offset:4 ; 4-byte Folded Reload
	buffer_load_dword v58, off, s[56:59], 0 offset:8 ; 4-byte Folded Reload
	;; [unrolled: 1-line block ×3, first 2 shown]
	s_waitcnt vmcnt(16)
	v_mul_f64 v[32:33], v[40:41], v[176:177]
	v_mul_f64 v[12:13], v[40:41], v[178:179]
	s_waitcnt vmcnt(8)
	v_mul_f64 v[22:23], v[44:45], v[8:9]
	s_waitcnt vmcnt(0)
	v_mul_f64 v[18:19], v[52:53], v[58:59]
	v_mul_f64 v[20:21], v[52:53], v[56:57]
	buffer_load_dword v52, off, s[56:59], 0 offset:212 ; 4-byte Folded Reload
	buffer_load_dword v53, off, s[56:59], 0 offset:216 ; 4-byte Folded Reload
	;; [unrolled: 1-line block ×8, first 2 shown]
	v_mul_f64 v[16:17], v[44:45], v[10:11]
	v_mul_f64 v[14:15], v[48:49], v[182:183]
	v_fma_f64 v[12:13], v[38:39], v[176:177], v[12:13]
	v_fma_f64 v[10:11], v[42:43], v[10:11], -v[22:23]
	v_mul_f64 v[22:23], v[48:49], v[180:181]
	v_fma_f64 v[20:21], v[50:51], v[58:59], -v[20:21]
	v_fma_f64 v[8:9], v[42:43], v[8:9], v[16:17]
	v_fma_f64 v[16:17], v[50:51], v[56:57], v[18:19]
	;; [unrolled: 1-line block ×3, first 2 shown]
	v_fma_f64 v[18:19], v[46:47], v[182:183], -v[22:23]
	v_fma_f64 v[22:23], v[38:39], v[178:179], -v[32:33]
	v_add_f64 v[40:41], v[8:9], -v[16:17]
	v_add_f64 v[32:33], v[12:13], -v[14:15]
	v_add_f64 v[8:9], v[8:9], v[16:17]
	v_add_f64 v[12:13], v[14:15], v[12:13]
	v_add_f64 v[44:45], v[40:41], -v[32:33]
	s_waitcnt vmcnt(4)
	v_mul_f64 v[24:25], v[54:55], v[172:173]
	s_waitcnt vmcnt(0)
	v_mul_f64 v[26:27], v[36:37], v[0:1]
	v_mul_f64 v[28:29], v[36:37], v[2:3]
	;; [unrolled: 1-line block ×3, first 2 shown]
	v_add_f64 v[36:37], v[18:19], v[22:23]
	v_add_f64 v[18:19], v[22:23], -v[18:19]
	v_fma_f64 v[24:25], v[52:53], v[174:175], -v[24:25]
	v_fma_f64 v[26:27], v[34:35], v[2:3], -v[26:27]
	v_fma_f64 v[0:1], v[34:35], v[0:1], v[28:29]
	v_fma_f64 v[2:3], v[52:53], v[172:173], v[30:31]
	v_add_f64 v[28:29], v[10:11], v[20:21]
	v_add_f64 v[10:11], v[10:11], -v[20:21]
	v_add_f64 v[20:21], v[8:9], -v[12:13]
	v_add_f64 v[30:31], v[26:27], v[24:25]
	v_add_f64 v[22:23], v[26:27], -v[24:25]
	v_add_f64 v[34:35], v[0:1], -v[2:3]
	v_add_f64 v[16:17], v[0:1], v[2:3]
	v_add_f64 v[0:1], v[28:29], -v[36:37]
	v_mul_f64 v[20:21], v[20:21], s[18:19]
	v_add_f64 v[38:39], v[30:31], v[28:29]
	v_add_f64 v[28:29], v[30:31], -v[28:29]
	v_add_f64 v[42:43], v[32:33], -v[34:35]
	v_add_f64 v[32:33], v[32:33], v[34:35]
	v_mul_f64 v[14:15], v[0:1], s[18:19]
	v_add_f64 v[46:47], v[16:17], v[8:9]
	v_add_f64 v[24:25], v[34:35], -v[40:41]
	v_add_f64 v[34:35], v[18:19], -v[22:23]
	v_add_f64 v[38:39], v[36:37], v[38:39]
	v_add_f64 v[36:37], v[36:37], -v[30:31]
	v_mul_f64 v[42:43], v[42:43], s[20:21]
	v_add_f64 v[32:33], v[32:33], v[40:41]
	v_add_f64 v[8:9], v[16:17], -v[8:9]
	v_mul_f64 v[34:35], v[34:35], s[20:21]
	v_add_f64 v[2:3], v[6:7], v[38:39]
	v_fma_f64 v[48:49], v[36:37], s[14:15], v[14:15]
	v_add_f64 v[6:7], v[12:13], v[46:47]
	v_fma_f64 v[46:47], v[44:45], s[30:31], v[42:43]
	v_add_f64 v[12:13], v[12:13], -v[16:17]
	v_mul_f64 v[30:31], v[36:37], s[14:15]
	v_mul_f64 v[36:37], v[24:25], s[2:3]
	v_fma_f64 v[14:15], v[28:29], s[22:23], -v[14:15]
	v_fma_f64 v[38:39], v[38:39], s[28:29], v[2:3]
	v_fma_f64 v[24:25], v[24:25], s[2:3], -v[42:43]
	v_add_f64 v[0:1], v[4:5], v[6:7]
	v_fma_f64 v[4:5], v[32:33], s[24:25], v[46:47]
	v_add_f64 v[46:47], v[10:11], -v[18:19]
	v_add_f64 v[18:19], v[18:19], v[22:23]
	v_fma_f64 v[36:37], v[44:45], s[26:27], -v[36:37]
	v_add_f64 v[26:27], v[48:49], v[38:39]
	v_add_f64 v[48:49], v[22:23], -v[10:11]
	v_mul_f64 v[22:23], v[12:13], s[14:15]
	v_fma_f64 v[40:41], v[6:7], s[28:29], v[0:1]
	v_fma_f64 v[12:13], v[12:13], s[14:15], v[20:21]
	;; [unrolled: 1-line block ×3, first 2 shown]
	v_add_f64 v[10:11], v[18:19], v[10:11]
	v_fma_f64 v[18:19], v[28:29], s[16:17], -v[30:31]
	v_add_f64 v[30:31], v[14:15], v[38:39]
	v_mul_f64 v[16:17], v[48:49], s[2:3]
	v_fma_f64 v[14:15], v[8:9], s[22:23], -v[20:21]
	v_fma_f64 v[8:9], v[8:9], s[16:17], -v[22:23]
	;; [unrolled: 1-line block ×3, first 2 shown]
	v_fma_f64 v[28:29], v[32:33], s[24:25], v[36:37]
	v_fma_f64 v[22:23], v[32:33], s[24:25], v[24:25]
	v_add_f64 v[32:33], v[12:13], v[40:41]
	v_fma_f64 v[34:35], v[10:11], s[24:25], v[44:45]
	v_fma_f64 v[16:17], v[46:47], s[26:27], -v[16:17]
	v_add_f64 v[18:19], v[18:19], v[38:39]
	v_add_f64 v[36:37], v[14:15], v[40:41]
	v_add_f64 v[8:9], v[8:9], v[40:41]
	v_fma_f64 v[12:13], v[10:11], s[24:25], v[20:21]
	v_add_f64 v[6:7], v[4:5], v[26:27]
	v_add_f64 v[26:27], v[26:27], -v[4:5]
	v_add_f64 v[24:25], v[34:35], v[32:33]
	v_fma_f64 v[38:39], v[10:11], s[24:25], v[16:17]
	v_add_f64 v[14:15], v[18:19], -v[22:23]
	v_add_f64 v[18:19], v[22:23], v[18:19]
	v_add_f64 v[22:23], v[30:31], -v[28:29]
	v_add_f64 v[16:17], v[8:9], -v[12:13]
	v_add_f64 v[12:13], v[12:13], v[8:9]
	v_add_f64 v[10:11], v[28:29], v[30:31]
	v_add_f64 v[4:5], v[32:33], -v[34:35]
	v_add_f64 v[20:21], v[38:39], v[36:37]
	v_add_f64 v[8:9], v[36:37], -v[38:39]
	ds_write_b128 v236, v[0:3] offset:17472
	ds_write_b128 v236, v[24:27] offset:18720
	;; [unrolled: 1-line block ×7, first 2 shown]
.LBB0_29:
	s_or_b64 exec, exec, s[34:35]
	s_waitcnt lgkmcnt(0)
	s_barrier
	ds_read_b128 v[0:3], v255 offset:8736
	ds_read_b128 v[4:7], v255
	ds_read_b128 v[8:11], v255 offset:2912
	ds_read_b128 v[12:15], v255 offset:17472
	;; [unrolled: 1-line block ×4, first 2 shown]
	s_waitcnt lgkmcnt(5)
	v_mul_f64 v[36:37], v[94:95], v[2:3]
	ds_read_b128 v[24:27], v255 offset:11648
	ds_read_b128 v[28:31], v255 offset:14560
	s_waitcnt lgkmcnt(4)
	v_mul_f64 v[40:41], v[98:99], v[14:15]
	v_mul_f64 v[38:39], v[94:95], v[0:1]
	;; [unrolled: 1-line block ×3, first 2 shown]
	s_waitcnt lgkmcnt(1)
	v_mul_f64 v[44:45], v[106:107], v[26:27]
	v_mul_f64 v[46:47], v[106:107], v[24:25]
	v_fma_f64 v[36:37], v[92:93], v[0:1], v[36:37]
	v_mul_f64 v[0:1], v[102:103], v[18:19]
	ds_read_b128 v[32:35], v255 offset:23296
	v_fma_f64 v[12:13], v[96:97], v[12:13], v[40:41]
	v_fma_f64 v[2:3], v[92:93], v[2:3], -v[38:39]
	v_fma_f64 v[14:15], v[96:97], v[14:15], -v[42:43]
	v_mul_f64 v[38:39], v[102:103], v[16:17]
	v_fma_f64 v[40:41], v[104:105], v[24:25], v[44:45]
	s_waitcnt lgkmcnt(1)
	v_mul_f64 v[24:25], v[114:115], v[30:31]
	v_mul_f64 v[42:43], v[114:115], v[28:29]
	v_fma_f64 v[26:27], v[104:105], v[26:27], -v[46:47]
	v_add_f64 v[44:45], v[36:37], v[12:13]
	v_fma_f64 v[46:47], v[100:101], v[16:17], v[0:1]
	s_waitcnt lgkmcnt(0)
	v_mul_f64 v[0:1], v[110:111], v[34:35]
	v_fma_f64 v[18:19], v[100:101], v[18:19], -v[38:39]
	v_mul_f64 v[16:17], v[110:111], v[32:33]
	v_add_f64 v[38:39], v[4:5], v[36:37]
	v_fma_f64 v[28:29], v[112:113], v[28:29], v[24:25]
	v_fma_f64 v[30:31], v[112:113], v[30:31], -v[42:43]
	v_fma_f64 v[24:25], v[44:45], -0.5, v[4:5]
	v_add_f64 v[44:45], v[2:3], v[14:15]
	v_add_f64 v[42:43], v[2:3], -v[14:15]
	v_fma_f64 v[32:33], v[108:109], v[32:33], v[0:1]
	v_fma_f64 v[34:35], v[108:109], v[34:35], -v[16:17]
	v_add_f64 v[0:1], v[38:39], v[12:13]
	v_add_f64 v[16:17], v[40:41], v[46:47]
	;; [unrolled: 1-line block ×3, first 2 shown]
	v_add_f64 v[36:37], v[36:37], -v[12:13]
	v_fma_f64 v[38:39], v[44:45], -0.5, v[6:7]
	s_mov_b32 s2, 0xe8584caa
	s_mov_b32 s3, 0xbfebb67a
	;; [unrolled: 1-line block ×4, first 2 shown]
	v_fma_f64 v[4:5], v[42:43], s[2:3], v[24:25]
	v_fma_f64 v[12:13], v[42:43], s[4:5], v[24:25]
	v_add_f64 v[42:43], v[26:27], v[18:19]
	v_add_f64 v[44:45], v[8:9], v[40:41]
	v_fma_f64 v[48:49], v[16:17], -0.5, v[8:9]
	v_add_f64 v[50:51], v[26:27], -v[18:19]
	v_add_f64 v[2:3], v[2:3], v[14:15]
	v_fma_f64 v[6:7], v[36:37], s[4:5], v[38:39]
	v_fma_f64 v[14:15], v[36:37], s[2:3], v[38:39]
	v_add_f64 v[36:37], v[28:29], v[32:33]
	v_add_f64 v[38:39], v[30:31], v[34:35]
	;; [unrolled: 1-line block ×3, first 2 shown]
	v_fma_f64 v[42:43], v[42:43], -0.5, v[10:11]
	v_add_f64 v[40:41], v[40:41], -v[46:47]
	v_add_f64 v[8:9], v[44:45], v[46:47]
	v_add_f64 v[44:45], v[20:21], v[28:29]
	v_add_f64 v[46:47], v[30:31], -v[34:35]
	v_add_f64 v[30:31], v[22:23], v[30:31]
	v_fma_f64 v[16:17], v[50:51], s[2:3], v[48:49]
	v_fma_f64 v[24:25], v[50:51], s[4:5], v[48:49]
	v_fma_f64 v[36:37], v[36:37], -0.5, v[20:21]
	v_fma_f64 v[38:39], v[38:39], -0.5, v[22:23]
	v_add_f64 v[48:49], v[28:29], -v[32:33]
	v_add_f64 v[10:11], v[26:27], v[18:19]
	v_fma_f64 v[18:19], v[40:41], s[4:5], v[42:43]
	v_fma_f64 v[26:27], v[40:41], s[2:3], v[42:43]
	v_add_f64 v[20:21], v[44:45], v[32:33]
	v_add_f64 v[22:23], v[30:31], v[34:35]
	v_fma_f64 v[28:29], v[46:47], s[2:3], v[36:37]
	v_fma_f64 v[32:33], v[46:47], s[4:5], v[36:37]
	;; [unrolled: 1-line block ×4, first 2 shown]
	ds_write_b128 v255, v[0:3]
	ds_write_b128 v255, v[4:7] offset:8736
	ds_write_b128 v255, v[12:15] offset:17472
	;; [unrolled: 1-line block ×8, first 2 shown]
	s_waitcnt lgkmcnt(0)
	s_barrier
	s_and_b64 exec, exec, s[0:1]
	s_cbranch_execz .LBB0_31
; %bb.30:
	global_load_dwordx4 v[0:3], v255, s[12:13]
	global_load_dwordx4 v[4:7], v255, s[12:13] offset:2016
	v_mov_b32_e32 v12, s13
	v_add_co_u32_e32 v82, vcc, s12, v255
	s_movk_i32 s0, 0x1000
	v_addc_co_u32_e32 v83, vcc, 0, v12, vcc
	v_add_co_u32_e32 v16, vcc, s0, v82
	v_addc_co_u32_e32 v17, vcc, 0, v83, vcc
	global_load_dwordx4 v[8:11], v255, s[12:13] offset:4032
	global_load_dwordx4 v[12:15], v[16:17], off offset:1952
	s_movk_i32 s5, 0x2000
	global_load_dwordx4 v[16:19], v[16:17], off offset:3968
	v_add_co_u32_e32 v64, vcc, s5, v82
	v_addc_co_u32_e32 v65, vcc, 0, v83, vcc
	ds_read_b128 v[20:23], v255
	ds_read_b128 v[24:27], v255 offset:2016
	ds_read_b128 v[28:31], v255 offset:4032
	ds_read_b128 v[32:35], v255 offset:6048
	ds_read_b128 v[36:39], v255 offset:8064
	ds_read_b128 v[40:43], v255 offset:10080
	global_load_dwordx4 v[48:51], v[64:65], off offset:1888
	v_mov_b32_e32 v81, s7
	s_movk_i32 s7, 0x3000
	v_add_co_u32_e32 v66, vcc, s7, v82
	ds_read_b128 v[44:47], v255 offset:24192
	v_addc_co_u32_e32 v67, vcc, 0, v83, vcc
	global_load_dwordx4 v[52:55], v[64:65], off offset:3904
	global_load_dwordx4 v[56:59], v[66:67], off offset:1824
	;; [unrolled: 1-line block ×3, first 2 shown]
	v_mad_u64_u32 v[72:73], s[0:1], s10, v253, 0
	v_mad_u64_u32 v[74:75], s[2:3], s8, v254, 0
	s_mul_i32 s3, s9, 0x7e0
	s_mul_hi_u32 s4, s8, 0x7e0
	v_mov_b32_e32 v64, v73
	v_mov_b32_e32 v65, v75
	s_add_i32 s3, s4, s3
	v_mad_u64_u32 v[78:79], s[4:5], s11, v253, v[64:65]
	v_mad_u64_u32 v[79:80], s[4:5], s9, v254, v[65:66]
	s_mul_i32 s2, s8, 0x7e0
	s_movk_i32 s8, 0x4000
	v_mov_b32_e32 v73, v78
	v_add_co_u32_e32 v76, vcc, s8, v82
	v_lshlrev_b64 v[72:73], 4, v[72:73]
	v_addc_co_u32_e32 v77, vcc, 0, v83, vcc
	v_mov_b32_e32 v75, v79
	v_lshlrev_b64 v[74:75], 4, v[74:75]
	v_add_co_u32_e32 v72, vcc, s6, v72
	v_addc_co_u32_e32 v73, vcc, v81, v73, vcc
	v_add_co_u32_e32 v72, vcc, v72, v74
	v_addc_co_u32_e32 v73, vcc, v73, v75, vcc
	global_load_dwordx4 v[64:67], v[76:77], off offset:1760
	global_load_dwordx4 v[68:71], v[76:77], off offset:3776
	s_mov_b32 s0, 0x14014014
	s_mov_b32 s1, 0x3f440140
	v_mov_b32_e32 v84, s3
	v_add_co_u32_e32 v78, vcc, s2, v72
	s_movk_i32 s10, 0x5000
	v_addc_co_u32_e32 v79, vcc, v73, v84, vcc
	v_mov_b32_e32 v85, s3
	s_waitcnt vmcnt(10) lgkmcnt(6)
	v_mul_f64 v[74:75], v[22:23], v[2:3]
	v_mul_f64 v[2:3], v[20:21], v[2:3]
	s_waitcnt vmcnt(9) lgkmcnt(5)
	v_mul_f64 v[76:77], v[26:27], v[6:7]
	v_mul_f64 v[6:7], v[24:25], v[6:7]
	v_fma_f64 v[20:21], v[20:21], v[0:1], v[74:75]
	v_fma_f64 v[2:3], v[0:1], v[22:23], -v[2:3]
	v_fma_f64 v[22:23], v[24:25], v[4:5], v[76:77]
	v_fma_f64 v[6:7], v[4:5], v[26:27], -v[6:7]
	s_waitcnt vmcnt(8) lgkmcnt(4)
	v_mul_f64 v[80:81], v[30:31], v[10:11]
	s_waitcnt vmcnt(7) lgkmcnt(3)
	v_mul_f64 v[24:25], v[34:35], v[14:15]
	v_mul_f64 v[10:11], v[28:29], v[10:11]
	;; [unrolled: 1-line block ×7, first 2 shown]
	v_fma_f64 v[26:27], v[28:29], v[8:9], v[80:81]
	v_fma_f64 v[22:23], v[32:33], v[12:13], v[24:25]
	v_add_co_u32_e32 v24, vcc, s10, v82
	global_store_dwordx4 v[72:73], v[0:3], off
	global_store_dwordx4 v[78:79], v[4:7], off
	v_addc_co_u32_e32 v25, vcc, 0, v83, vcc
	global_load_dwordx4 v[0:3], v[24:25], off offset:1696
	v_fma_f64 v[10:11], v[8:9], v[30:31], -v[10:11]
	s_waitcnt vmcnt(9) lgkmcnt(2)
	v_mul_f64 v[20:21], v[38:39], v[18:19]
	v_mul_f64 v[18:19], v[36:37], v[18:19]
	v_fma_f64 v[12:13], v[12:13], v[34:35], -v[14:15]
	v_mul_f64 v[8:9], v[26:27], s[0:1]
	v_add_co_u32_e32 v14, vcc, s2, v78
	v_addc_co_u32_e32 v15, vcc, v79, v85, vcc
	v_mul_f64 v[10:11], v[10:11], s[0:1]
	v_mul_f64 v[4:5], v[22:23], s[0:1]
	;; [unrolled: 1-line block ×3, first 2 shown]
	s_waitcnt vmcnt(8) lgkmcnt(1)
	v_mul_f64 v[12:13], v[42:43], v[50:51]
	v_mov_b32_e32 v22, s3
	v_mov_b32_e32 v28, s3
	global_store_dwordx4 v[14:15], v[8:11], off
	s_nop 0
	v_fma_f64 v[8:9], v[36:37], v[16:17], v[20:21]
	v_fma_f64 v[10:11], v[16:17], v[38:39], -v[18:19]
	v_mul_f64 v[16:17], v[40:41], v[50:51]
	v_add_co_u32_e32 v18, vcc, s2, v14
	v_addc_co_u32_e32 v19, vcc, v15, v22, vcc
	global_store_dwordx4 v[18:19], v[4:7], off
	v_fma_f64 v[20:21], v[40:41], v[48:49], v[12:13]
	v_mul_f64 v[4:5], v[8:9], s[0:1]
	v_mul_f64 v[6:7], v[10:11], s[0:1]
	ds_read_b128 v[8:11], v255 offset:12096
	ds_read_b128 v[12:15], v255 offset:14112
	v_fma_f64 v[16:17], v[48:49], v[42:43], -v[16:17]
	v_add_co_u32_e32 v18, vcc, s2, v18
	s_waitcnt vmcnt(9) lgkmcnt(1)
	v_mul_f64 v[22:23], v[10:11], v[54:55]
	v_mul_f64 v[26:27], v[8:9], v[54:55]
	v_addc_co_u32_e32 v19, vcc, v19, v28, vcc
	global_store_dwordx4 v[18:19], v[4:7], off
	v_add_co_u32_e32 v18, vcc, s2, v18
	v_mul_f64 v[4:5], v[20:21], s[0:1]
	v_mul_f64 v[6:7], v[16:17], s[0:1]
	v_fma_f64 v[8:9], v[8:9], v[52:53], v[22:23]
	v_fma_f64 v[10:11], v[52:53], v[10:11], -v[26:27]
	s_waitcnt vmcnt(9) lgkmcnt(0)
	v_mul_f64 v[16:17], v[14:15], v[58:59]
	v_mul_f64 v[20:21], v[12:13], v[58:59]
	v_addc_co_u32_e32 v19, vcc, v19, v28, vcc
	global_store_dwordx4 v[18:19], v[4:7], off
	s_nop 0
	v_mul_f64 v[4:5], v[8:9], s[0:1]
	v_mul_f64 v[6:7], v[10:11], s[0:1]
	ds_read_b128 v[8:11], v255 offset:16128
	v_fma_f64 v[16:17], v[12:13], v[56:57], v[16:17]
	v_fma_f64 v[20:21], v[56:57], v[14:15], -v[20:21]
	ds_read_b128 v[12:15], v255 offset:18144
	v_add_co_u32_e32 v18, vcc, s2, v18
	s_waitcnt vmcnt(9) lgkmcnt(1)
	v_mul_f64 v[22:23], v[10:11], v[62:63]
	v_mul_f64 v[26:27], v[8:9], v[62:63]
	v_addc_co_u32_e32 v19, vcc, v19, v28, vcc
	global_store_dwordx4 v[18:19], v[4:7], off
	v_add_co_u32_e32 v18, vcc, s2, v18
	v_mul_f64 v[4:5], v[16:17], s[0:1]
	v_mul_f64 v[6:7], v[20:21], s[0:1]
	v_fma_f64 v[8:9], v[8:9], v[60:61], v[22:23]
	v_fma_f64 v[10:11], v[60:61], v[10:11], -v[26:27]
	s_waitcnt vmcnt(9) lgkmcnt(0)
	v_mul_f64 v[16:17], v[14:15], v[66:67]
	v_mul_f64 v[20:21], v[12:13], v[66:67]
	v_addc_co_u32_e32 v19, vcc, v19, v28, vcc
	v_mov_b32_e32 v22, s3
	global_store_dwordx4 v[18:19], v[4:7], off
	v_add_co_u32_e32 v18, vcc, s2, v18
	v_mul_f64 v[4:5], v[8:9], s[0:1]
	v_mul_f64 v[6:7], v[10:11], s[0:1]
	v_fma_f64 v[16:17], v[12:13], v[64:65], v[16:17]
	v_fma_f64 v[20:21], v[64:65], v[14:15], -v[20:21]
	ds_read_b128 v[8:11], v255 offset:20160
	ds_read_b128 v[12:15], v255 offset:22176
	v_addc_co_u32_e32 v19, vcc, v19, v22, vcc
	s_waitcnt vmcnt(9) lgkmcnt(1)
	v_mul_f64 v[22:23], v[10:11], v[70:71]
	v_mul_f64 v[26:27], v[8:9], v[70:71]
	s_waitcnt vmcnt(6) lgkmcnt(0)
	v_mul_f64 v[28:29], v[14:15], v[2:3]
	v_mul_f64 v[30:31], v[12:13], v[2:3]
	global_store_dwordx4 v[18:19], v[4:7], off
	v_mul_f64 v[2:3], v[16:17], s[0:1]
	v_mul_f64 v[4:5], v[20:21], s[0:1]
	v_mov_b32_e32 v16, s3
	v_fma_f64 v[6:7], v[8:9], v[68:69], v[22:23]
	v_fma_f64 v[8:9], v[68:69], v[10:11], -v[26:27]
	v_fma_f64 v[10:11], v[12:13], v[0:1], v[28:29]
	v_fma_f64 v[12:13], v[0:1], v[14:15], -v[30:31]
	v_add_co_u32_e32 v14, vcc, s2, v18
	v_addc_co_u32_e32 v15, vcc, v19, v16, vcc
	global_store_dwordx4 v[14:15], v[2:5], off
	v_mul_f64 v[0:1], v[6:7], s[0:1]
	v_mul_f64 v[2:3], v[8:9], s[0:1]
	;; [unrolled: 1-line block ×4, first 2 shown]
	v_mov_b32_e32 v9, s3
	v_add_co_u32_e32 v8, vcc, s2, v14
	v_addc_co_u32_e32 v9, vcc, v15, v9, vcc
	global_store_dwordx4 v[8:9], v[0:3], off
	v_add_co_u32_e32 v8, vcc, s2, v8
	v_mov_b32_e32 v0, s3
	v_addc_co_u32_e32 v9, vcc, v9, v0, vcc
	global_store_dwordx4 v[8:9], v[4:7], off
	global_load_dwordx4 v[0:3], v[24:25], off offset:3712
	s_waitcnt vmcnt(0)
	v_mul_f64 v[4:5], v[46:47], v[2:3]
	v_mul_f64 v[2:3], v[44:45], v[2:3]
	v_fma_f64 v[4:5], v[44:45], v[0:1], v[4:5]
	v_fma_f64 v[2:3], v[0:1], v[46:47], -v[2:3]
	v_mul_f64 v[0:1], v[4:5], s[0:1]
	v_mul_f64 v[2:3], v[2:3], s[0:1]
	v_mov_b32_e32 v5, s3
	v_add_co_u32_e32 v4, vcc, s2, v8
	v_addc_co_u32_e32 v5, vcc, v9, v5, vcc
	global_store_dwordx4 v[4:5], v[0:3], off
.LBB0_31:
	s_endpgm
	.section	.rodata,"a",@progbits
	.p2align	6, 0x0
	.amdhsa_kernel bluestein_single_back_len1638_dim1_dp_op_CI_CI
		.amdhsa_group_segment_fixed_size 26208
		.amdhsa_private_segment_fixed_size 632
		.amdhsa_kernarg_size 104
		.amdhsa_user_sgpr_count 6
		.amdhsa_user_sgpr_private_segment_buffer 1
		.amdhsa_user_sgpr_dispatch_ptr 0
		.amdhsa_user_sgpr_queue_ptr 0
		.amdhsa_user_sgpr_kernarg_segment_ptr 1
		.amdhsa_user_sgpr_dispatch_id 0
		.amdhsa_user_sgpr_flat_scratch_init 0
		.amdhsa_user_sgpr_private_segment_size 0
		.amdhsa_uses_dynamic_stack 0
		.amdhsa_system_sgpr_private_segment_wavefront_offset 1
		.amdhsa_system_sgpr_workgroup_id_x 1
		.amdhsa_system_sgpr_workgroup_id_y 0
		.amdhsa_system_sgpr_workgroup_id_z 0
		.amdhsa_system_sgpr_workgroup_info 0
		.amdhsa_system_vgpr_workitem_id 0
		.amdhsa_next_free_vgpr 256
		.amdhsa_next_free_sgpr 60
		.amdhsa_reserve_vcc 1
		.amdhsa_reserve_flat_scratch 0
		.amdhsa_float_round_mode_32 0
		.amdhsa_float_round_mode_16_64 0
		.amdhsa_float_denorm_mode_32 3
		.amdhsa_float_denorm_mode_16_64 3
		.amdhsa_dx10_clamp 1
		.amdhsa_ieee_mode 1
		.amdhsa_fp16_overflow 0
		.amdhsa_exception_fp_ieee_invalid_op 0
		.amdhsa_exception_fp_denorm_src 0
		.amdhsa_exception_fp_ieee_div_zero 0
		.amdhsa_exception_fp_ieee_overflow 0
		.amdhsa_exception_fp_ieee_underflow 0
		.amdhsa_exception_fp_ieee_inexact 0
		.amdhsa_exception_int_div_zero 0
	.end_amdhsa_kernel
	.text
.Lfunc_end0:
	.size	bluestein_single_back_len1638_dim1_dp_op_CI_CI, .Lfunc_end0-bluestein_single_back_len1638_dim1_dp_op_CI_CI
                                        ; -- End function
	.section	.AMDGPU.csdata,"",@progbits
; Kernel info:
; codeLenInByte = 24528
; NumSgprs: 64
; NumVgprs: 256
; ScratchSize: 632
; MemoryBound: 0
; FloatMode: 240
; IeeeMode: 1
; LDSByteSize: 26208 bytes/workgroup (compile time only)
; SGPRBlocks: 7
; VGPRBlocks: 63
; NumSGPRsForWavesPerEU: 64
; NumVGPRsForWavesPerEU: 256
; Occupancy: 1
; WaveLimiterHint : 1
; COMPUTE_PGM_RSRC2:SCRATCH_EN: 1
; COMPUTE_PGM_RSRC2:USER_SGPR: 6
; COMPUTE_PGM_RSRC2:TRAP_HANDLER: 0
; COMPUTE_PGM_RSRC2:TGID_X_EN: 1
; COMPUTE_PGM_RSRC2:TGID_Y_EN: 0
; COMPUTE_PGM_RSRC2:TGID_Z_EN: 0
; COMPUTE_PGM_RSRC2:TIDIG_COMP_CNT: 0
	.type	__hip_cuid_e6f12d41048fa897,@object ; @__hip_cuid_e6f12d41048fa897
	.section	.bss,"aw",@nobits
	.globl	__hip_cuid_e6f12d41048fa897
__hip_cuid_e6f12d41048fa897:
	.byte	0                               ; 0x0
	.size	__hip_cuid_e6f12d41048fa897, 1

	.ident	"AMD clang version 19.0.0git (https://github.com/RadeonOpenCompute/llvm-project roc-6.4.0 25133 c7fe45cf4b819c5991fe208aaa96edf142730f1d)"
	.section	".note.GNU-stack","",@progbits
	.addrsig
	.addrsig_sym __hip_cuid_e6f12d41048fa897
	.amdgpu_metadata
---
amdhsa.kernels:
  - .args:
      - .actual_access:  read_only
        .address_space:  global
        .offset:         0
        .size:           8
        .value_kind:     global_buffer
      - .actual_access:  read_only
        .address_space:  global
        .offset:         8
        .size:           8
        .value_kind:     global_buffer
      - .actual_access:  read_only
        .address_space:  global
        .offset:         16
        .size:           8
        .value_kind:     global_buffer
      - .actual_access:  read_only
        .address_space:  global
        .offset:         24
        .size:           8
        .value_kind:     global_buffer
      - .actual_access:  read_only
        .address_space:  global
        .offset:         32
        .size:           8
        .value_kind:     global_buffer
      - .offset:         40
        .size:           8
        .value_kind:     by_value
      - .address_space:  global
        .offset:         48
        .size:           8
        .value_kind:     global_buffer
      - .address_space:  global
        .offset:         56
        .size:           8
        .value_kind:     global_buffer
      - .address_space:  global
        .offset:         64
        .size:           8
        .value_kind:     global_buffer
      - .address_space:  global
        .offset:         72
        .size:           8
        .value_kind:     global_buffer
      - .offset:         80
        .size:           4
        .value_kind:     by_value
      - .address_space:  global
        .offset:         88
        .size:           8
        .value_kind:     global_buffer
      - .address_space:  global
        .offset:         96
        .size:           8
        .value_kind:     global_buffer
    .group_segment_fixed_size: 26208
    .kernarg_segment_align: 8
    .kernarg_segment_size: 104
    .language:       OpenCL C
    .language_version:
      - 2
      - 0
    .max_flat_workgroup_size: 182
    .name:           bluestein_single_back_len1638_dim1_dp_op_CI_CI
    .private_segment_fixed_size: 632
    .sgpr_count:     64
    .sgpr_spill_count: 0
    .symbol:         bluestein_single_back_len1638_dim1_dp_op_CI_CI.kd
    .uniform_work_group_size: 1
    .uses_dynamic_stack: false
    .vgpr_count:     256
    .vgpr_spill_count: 171
    .wavefront_size: 64
amdhsa.target:   amdgcn-amd-amdhsa--gfx906
amdhsa.version:
  - 1
  - 2
...

	.end_amdgpu_metadata
